;; amdgpu-corpus repo=ROCm/rocFFT kind=compiled arch=gfx1201 opt=O3
	.text
	.amdgcn_target "amdgcn-amd-amdhsa--gfx1201"
	.amdhsa_code_object_version 6
	.protected	fft_rtc_fwd_len240_factors_4_4_3_5_wgs_240_tpt_20_dim3_sp_ip_CI_sbcc_twdbase8_3step_dirReg_intrinsicReadWrite ; -- Begin function fft_rtc_fwd_len240_factors_4_4_3_5_wgs_240_tpt_20_dim3_sp_ip_CI_sbcc_twdbase8_3step_dirReg_intrinsicReadWrite
	.globl	fft_rtc_fwd_len240_factors_4_4_3_5_wgs_240_tpt_20_dim3_sp_ip_CI_sbcc_twdbase8_3step_dirReg_intrinsicReadWrite
	.p2align	8
	.type	fft_rtc_fwd_len240_factors_4_4_3_5_wgs_240_tpt_20_dim3_sp_ip_CI_sbcc_twdbase8_3step_dirReg_intrinsicReadWrite,@function
fft_rtc_fwd_len240_factors_4_4_3_5_wgs_240_tpt_20_dim3_sp_ip_CI_sbcc_twdbase8_3step_dirReg_intrinsicReadWrite: ; @fft_rtc_fwd_len240_factors_4_4_3_5_wgs_240_tpt_20_dim3_sp_ip_CI_sbcc_twdbase8_3step_dirReg_intrinsicReadWrite
; %bb.0:
	s_load_b128 s[4:7], s[0:1], 0x10
	s_mov_b32 s11, 0
	s_mov_b32 s2, 0x55540000
	s_movk_i32 s3, 0x55
	s_mov_b32 s10, s11
	s_delay_alu instid0(SALU_CYCLE_1) | instskip(NEXT) | instid1(SALU_CYCLE_1)
	s_add_nc_u64 s[8:9], s[10:11], s[2:3]
	s_add_co_i32 s9, s9, 0x15555500
	s_delay_alu instid0(SALU_CYCLE_1) | instskip(NEXT) | instid1(SALU_CYCLE_1)
	s_mul_u64 s[12:13], s[8:9], -12
	s_mul_hi_u32 s15, s8, s13
	s_mul_i32 s14, s8, s13
	s_mul_hi_u32 s10, s8, s12
	s_mul_i32 s17, s9, s12
	s_add_nc_u64 s[14:15], s[10:11], s[14:15]
	s_mul_hi_u32 s16, s9, s12
	s_mul_hi_u32 s18, s9, s13
	s_add_co_u32 s10, s14, s17
	s_wait_kmcnt 0x0
	s_load_b64 s[2:3], s[4:5], 0x8
	s_add_co_ci_u32 s10, s15, s16
	s_mul_i32 s12, s9, s13
	s_add_co_ci_u32 s13, s18, 0
	s_delay_alu instid0(SALU_CYCLE_1) | instskip(NEXT) | instid1(SALU_CYCLE_1)
	s_add_nc_u64 s[12:13], s[10:11], s[12:13]
	v_add_co_u32 v1, s8, s8, s12
	s_delay_alu instid0(VALU_DEP_1) | instskip(SKIP_1) | instid1(VALU_DEP_1)
	s_cmp_lg_u32 s8, 0
	s_add_co_ci_u32 s14, s9, s13
	v_readfirstlane_b32 s15, v1
	s_wait_kmcnt 0x0
	s_add_nc_u64 s[8:9], s[2:3], -1
	s_wait_alu 0xfffe
	s_mul_hi_u32 s13, s8, s14
	s_mul_i32 s12, s8, s14
	s_mul_hi_u32 s10, s8, s15
	s_mul_hi_u32 s17, s9, s15
	s_mul_i32 s15, s9, s15
	s_wait_alu 0xfffe
	s_add_nc_u64 s[12:13], s[10:11], s[12:13]
	s_mul_hi_u32 s16, s9, s14
	s_wait_alu 0xfffe
	s_add_co_u32 s10, s12, s15
	s_add_co_ci_u32 s10, s13, s17
	s_mul_i32 s14, s9, s14
	s_add_co_ci_u32 s15, s16, 0
	s_delay_alu instid0(SALU_CYCLE_1) | instskip(SKIP_2) | instid1(SALU_CYCLE_1)
	s_add_nc_u64 s[12:13], s[10:11], s[14:15]
	s_wait_alu 0xfffe
	s_mul_u64 s[14:15], s[12:13], 12
	v_sub_co_u32 v1, s8, s8, s14
	s_delay_alu instid0(VALU_DEP_1) | instskip(SKIP_1) | instid1(VALU_DEP_1)
	s_cmp_lg_u32 s8, 0
	s_sub_co_ci_u32 s16, s9, s15
	v_sub_co_u32 v2, s10, v1, 12
	s_delay_alu instid0(VALU_DEP_1) | instskip(SKIP_2) | instid1(VALU_DEP_1)
	s_cmp_lg_u32 s10, 0
	s_add_nc_u64 s[14:15], s[12:13], 2
	s_sub_co_ci_u32 s10, s16, 0
	v_readfirstlane_b32 s8, v2
	s_delay_alu instid0(VALU_DEP_1)
	s_cmp_gt_u32 s8, 11
	s_add_nc_u64 s[8:9], s[12:13], 1
	s_cselect_b32 s17, -1, 0
	s_cmp_eq_u32 s10, 0
	s_cselect_b32 s10, s17, -1
	v_readfirstlane_b32 s17, v1
	s_cmp_lg_u32 s10, 0
	s_wait_alu 0xfffe
	s_cselect_b32 s8, s14, s8
	s_cselect_b32 s9, s15, s9
	s_cmp_gt_u32 s17, 11
	s_cselect_b32 s10, -1, 0
	s_cmp_eq_u32 s16, 0
	s_mov_b64 s[16:17], 0
	s_cselect_b32 s10, s10, -1
	s_delay_alu instid0(SALU_CYCLE_1)
	s_cmp_lg_u32 s10, 0
	s_mov_b32 s10, ttmp9
	s_wait_alu 0xfffe
	s_cselect_b32 s9, s9, s13
	s_cselect_b32 s8, s8, s12
	s_wait_alu 0xfffe
	s_add_nc_u64 s[12:13], s[8:9], 1
	s_wait_alu 0xfffe
	v_cmp_lt_u64_e64 s8, s[10:11], s[12:13]
	s_delay_alu instid0(VALU_DEP_1)
	s_and_b32 vcc_lo, exec_lo, s8
	s_cbranch_vccnz .LBB0_2
; %bb.1:
	v_cvt_f32_u32_e32 v1, s12
	s_sub_co_i32 s9, 0, s12
	s_mov_b32 s17, s11
	s_delay_alu instid0(VALU_DEP_1) | instskip(NEXT) | instid1(TRANS32_DEP_1)
	v_rcp_iflag_f32_e32 v1, v1
	v_mul_f32_e32 v1, 0x4f7ffffe, v1
	s_delay_alu instid0(VALU_DEP_1) | instskip(NEXT) | instid1(VALU_DEP_1)
	v_cvt_u32_f32_e32 v1, v1
	v_readfirstlane_b32 s8, v1
	s_wait_alu 0xfffe
	s_delay_alu instid0(VALU_DEP_1)
	s_mul_i32 s9, s9, s8
	s_wait_alu 0xfffe
	s_mul_hi_u32 s9, s8, s9
	s_wait_alu 0xfffe
	s_add_co_i32 s8, s8, s9
	s_wait_alu 0xfffe
	s_mul_hi_u32 s8, s10, s8
	s_wait_alu 0xfffe
	s_mul_i32 s9, s8, s12
	s_add_co_i32 s14, s8, 1
	s_wait_alu 0xfffe
	s_sub_co_i32 s9, s10, s9
	s_wait_alu 0xfffe
	s_sub_co_i32 s15, s9, s12
	s_cmp_ge_u32 s9, s12
	s_cselect_b32 s8, s14, s8
	s_wait_alu 0xfffe
	s_cselect_b32 s9, s15, s9
	s_add_co_i32 s14, s8, 1
	s_wait_alu 0xfffe
	s_cmp_ge_u32 s9, s12
	s_cselect_b32 s16, s14, s8
.LBB0_2:
	s_load_b64 s[22:23], s[4:5], 0x10
	s_load_b64 s[14:15], s[6:7], 0x8
	s_mov_b64 s[18:19], s[16:17]
	s_wait_kmcnt 0x0
	v_cmp_lt_u64_e64 s4, s[16:17], s[22:23]
	s_delay_alu instid0(VALU_DEP_1)
	s_and_b32 vcc_lo, exec_lo, s4
	s_cbranch_vccnz .LBB0_4
; %bb.3:
	v_cvt_f32_u32_e32 v1, s22
	s_sub_co_i32 s5, 0, s22
	s_mov_b32 s19, 0
	s_delay_alu instid0(VALU_DEP_1) | instskip(NEXT) | instid1(TRANS32_DEP_1)
	v_rcp_iflag_f32_e32 v1, v1
	v_mul_f32_e32 v1, 0x4f7ffffe, v1
	s_delay_alu instid0(VALU_DEP_1) | instskip(NEXT) | instid1(VALU_DEP_1)
	v_cvt_u32_f32_e32 v1, v1
	v_readfirstlane_b32 s4, v1
	s_delay_alu instid0(VALU_DEP_1) | instskip(NEXT) | instid1(SALU_CYCLE_1)
	s_mul_i32 s5, s5, s4
	s_mul_hi_u32 s5, s4, s5
	s_delay_alu instid0(SALU_CYCLE_1) | instskip(NEXT) | instid1(SALU_CYCLE_1)
	s_add_co_i32 s4, s4, s5
	s_mul_hi_u32 s4, s16, s4
	s_delay_alu instid0(SALU_CYCLE_1) | instskip(NEXT) | instid1(SALU_CYCLE_1)
	s_mul_i32 s4, s4, s22
	s_sub_co_i32 s4, s16, s4
	s_delay_alu instid0(SALU_CYCLE_1) | instskip(SKIP_2) | instid1(SALU_CYCLE_1)
	s_sub_co_i32 s5, s4, s22
	s_cmp_ge_u32 s4, s22
	s_cselect_b32 s4, s5, s4
	s_sub_co_i32 s5, s4, s22
	s_cmp_ge_u32 s4, s22
	s_cselect_b32 s18, s5, s4
.LBB0_4:
	s_load_b64 s[4:5], s[0:1], 0x50
	s_clause 0x1
	s_load_b64 s[8:9], s[6:7], 0x0
	s_load_b64 s[20:21], s[6:7], 0x10
	s_mul_u64 s[24:25], s[22:23], s[12:13]
	s_mov_b64 s[22:23], 0
	s_wait_kmcnt 0x0
	v_cmp_lt_u64_e64 s9, s[10:11], s[24:25]
	s_delay_alu instid0(VALU_DEP_1)
	s_and_b32 vcc_lo, exec_lo, s9
	s_cbranch_vccnz .LBB0_6
; %bb.5:
	v_cvt_f32_u32_e32 v1, s24
	s_sub_co_i32 s22, 0, s24
	s_delay_alu instid0(VALU_DEP_1) | instskip(NEXT) | instid1(TRANS32_DEP_1)
	v_rcp_iflag_f32_e32 v1, v1
	v_mul_f32_e32 v1, 0x4f7ffffe, v1
	s_delay_alu instid0(VALU_DEP_1) | instskip(NEXT) | instid1(VALU_DEP_1)
	v_cvt_u32_f32_e32 v1, v1
	v_readfirstlane_b32 s9, v1
	s_wait_alu 0xfffe
	s_delay_alu instid0(VALU_DEP_1)
	s_mul_i32 s22, s22, s9
	s_wait_alu 0xfffe
	s_mul_hi_u32 s22, s9, s22
	s_wait_alu 0xfffe
	s_add_co_i32 s9, s9, s22
	s_wait_alu 0xfffe
	s_mul_hi_u32 s9, s10, s9
	s_wait_alu 0xfffe
	s_mul_i32 s22, s9, s24
	s_add_co_i32 s23, s9, 1
	s_wait_alu 0xfffe
	s_sub_co_i32 s22, s10, s22
	s_wait_alu 0xfffe
	s_sub_co_i32 s25, s22, s24
	s_cmp_ge_u32 s22, s24
	s_cselect_b32 s9, s23, s9
	s_wait_alu 0xfffe
	s_cselect_b32 s22, s25, s22
	s_add_co_i32 s25, s9, 1
	s_wait_alu 0xfffe
	s_cmp_ge_u32 s22, s24
	s_mov_b32 s23, 0
	s_cselect_b32 s22, s25, s9
.LBB0_6:
	v_mul_u32_u24_e32 v1, 0x1556, v0
	s_load_b64 s[6:7], s[6:7], 0x18
	s_mul_u64 s[12:13], s[16:17], s[12:13]
	v_mov_b32_e32 v4, 0
	s_wait_alu 0xfffe
	s_sub_nc_u64 s[10:11], s[10:11], s[12:13]
	v_lshrrev_b32_e32 v69, 16, v1
	s_wait_alu 0xfffe
	s_mul_u64 s[10:11], s[10:11], 12
	s_mul_u64 s[12:13], s[20:21], s[18:19]
	s_wait_alu 0xfffe
	s_add_nc_u64 s[18:19], s[10:11], 12
	s_mul_u64 s[16:17], s[14:15], s[10:11]
	v_mul_lo_u16 v1, v69, 12
	s_wait_alu 0xfffe
	s_add_nc_u64 s[12:13], s[12:13], s[16:17]
	v_mov_b32_e32 v3, 0
	s_delay_alu instid0(VALU_DEP_2) | instskip(NEXT) | instid1(VALU_DEP_1)
	v_sub_nc_u16 v1, v0, v1
	v_and_b32_e32 v26, 0xffff, v1
	s_wait_kmcnt 0x0
	s_mul_u64 s[6:7], s[6:7], s[22:23]
	s_delay_alu instid0(VALU_DEP_1) | instskip(NEXT) | instid1(VALU_DEP_1)
	v_mad_co_u64_u32 v[36:37], null, s14, v26, 0
	v_mov_b32_e32 v1, v37
	v_add_co_u32 v33, s9, s10, v26
	s_wait_alu 0xf1ff
	v_add_co_ci_u32_e64 v34, null, s11, 0, s9
	v_cmp_le_u64_e64 s9, s[18:19], s[2:3]
	v_mad_co_u64_u32 v[1:2], null, s15, v26, v[1:2]
	s_delay_alu instid0(VALU_DEP_3)
	v_cmp_gt_u64_e32 vcc_lo, s[2:3], v[33:34]
	v_mov_b32_e32 v2, 0
	s_wait_alu 0xfffe
	s_add_nc_u64 s[10:11], s[6:7], s[12:13]
	s_or_b32 s11, s9, vcc_lo
	s_wait_alu 0xfffe
	s_and_saveexec_b32 s3, s11
	s_cbranch_execz .LBB0_8
; %bb.7:
	v_mul_lo_u32 v1, s8, v69
	v_mov_b32_e32 v4, 0
	s_delay_alu instid0(VALU_DEP_2) | instskip(NEXT) | instid1(VALU_DEP_1)
	v_add3_u32 v3, s10, v36, v1
	v_lshlrev_b64_e32 v[3:4], 3, v[3:4]
	s_delay_alu instid0(VALU_DEP_1) | instskip(SKIP_1) | instid1(VALU_DEP_2)
	v_add_co_u32 v3, s2, s4, v3
	s_wait_alu 0xf1ff
	v_add_co_ci_u32_e64 v4, s2, s5, v4, s2
	global_load_b64 v[3:4], v[3:4], off
.LBB0_8:
	s_wait_alu 0xfffe
	s_or_b32 exec_lo, exec_lo, s3
	v_add_nc_u32_e32 v25, 60, v69
	v_mov_b32_e32 v1, 0
	s_and_saveexec_b32 s3, s11
	s_cbranch_execz .LBB0_10
; %bb.9:
	s_delay_alu instid0(VALU_DEP_2) | instskip(SKIP_1) | instid1(VALU_DEP_2)
	v_mul_lo_u32 v1, s8, v25
	v_mov_b32_e32 v2, 0
	v_add3_u32 v1, s10, v36, v1
	s_delay_alu instid0(VALU_DEP_1) | instskip(NEXT) | instid1(VALU_DEP_1)
	v_lshlrev_b64_e32 v[1:2], 3, v[1:2]
	v_add_co_u32 v1, s2, s4, v1
	s_wait_alu 0xf1ff
	s_delay_alu instid0(VALU_DEP_2)
	v_add_co_ci_u32_e64 v2, s2, s5, v2, s2
	global_load_b64 v[1:2], v[1:2], off
.LBB0_10:
	s_wait_alu 0xfffe
	s_or_b32 exec_lo, exec_lo, s3
	v_dual_mov_b32 v6, 0 :: v_dual_mov_b32 v7, 0
	v_mov_b32_e32 v8, 0
	s_and_saveexec_b32 s3, s11
	s_cbranch_execz .LBB0_12
; %bb.11:
	v_dual_mov_b32 v8, 0 :: v_dual_add_nc_u32 v5, 0x78, v69
	s_delay_alu instid0(VALU_DEP_1) | instskip(NEXT) | instid1(VALU_DEP_1)
	v_mul_lo_u32 v5, s8, v5
	v_add3_u32 v7, s10, v36, v5
	s_delay_alu instid0(VALU_DEP_1) | instskip(NEXT) | instid1(VALU_DEP_1)
	v_lshlrev_b64_e32 v[7:8], 3, v[7:8]
	v_add_co_u32 v7, s2, s4, v7
	s_wait_alu 0xf1ff
	s_delay_alu instid0(VALU_DEP_2)
	v_add_co_ci_u32_e64 v8, s2, s5, v8, s2
	global_load_b64 v[7:8], v[7:8], off
.LBB0_12:
	s_wait_alu 0xfffe
	s_or_b32 exec_lo, exec_lo, s3
	v_mov_b32_e32 v5, 0
	s_and_saveexec_b32 s3, s11
	s_cbranch_execz .LBB0_14
; %bb.13:
	v_dual_mov_b32 v6, 0 :: v_dual_add_nc_u32 v5, 0xb4, v69
	s_delay_alu instid0(VALU_DEP_1) | instskip(NEXT) | instid1(VALU_DEP_1)
	v_mul_lo_u32 v5, s8, v5
	v_add3_u32 v5, s10, v36, v5
	s_delay_alu instid0(VALU_DEP_1) | instskip(NEXT) | instid1(VALU_DEP_1)
	v_lshlrev_b64_e32 v[5:6], 3, v[5:6]
	v_add_co_u32 v5, s2, s4, v5
	s_wait_alu 0xf1ff
	s_delay_alu instid0(VALU_DEP_2)
	v_add_co_ci_u32_e64 v6, s2, s5, v6, s2
	global_load_b64 v[5:6], v[5:6], off
.LBB0_14:
	s_wait_alu 0xfffe
	s_or_b32 exec_lo, exec_lo, s3
	v_dual_mov_b32 v11, 0 :: v_dual_add_nc_u32 v76, 20, v69
	v_mov_b32_e32 v10, 0
	v_mov_b32_e32 v12, 0
	s_and_saveexec_b32 s3, s11
	s_cbranch_execz .LBB0_16
; %bb.15:
	v_mul_lo_u32 v9, s8, v76
	v_mov_b32_e32 v12, 0
	s_delay_alu instid0(VALU_DEP_2) | instskip(NEXT) | instid1(VALU_DEP_1)
	v_add3_u32 v11, s10, v36, v9
	v_lshlrev_b64_e32 v[11:12], 3, v[11:12]
	s_delay_alu instid0(VALU_DEP_1) | instskip(SKIP_1) | instid1(VALU_DEP_2)
	v_add_co_u32 v11, s2, s4, v11
	s_wait_alu 0xf1ff
	v_add_co_ci_u32_e64 v12, s2, s5, v12, s2
	global_load_b64 v[11:12], v[11:12], off
.LBB0_16:
	s_wait_alu 0xfffe
	s_or_b32 exec_lo, exec_lo, s3
	v_mov_b32_e32 v9, 0
	s_and_saveexec_b32 s3, s11
	s_cbranch_execz .LBB0_18
; %bb.17:
	v_dual_mov_b32 v10, 0 :: v_dual_add_nc_u32 v9, 0x50, v69
	s_delay_alu instid0(VALU_DEP_1) | instskip(NEXT) | instid1(VALU_DEP_1)
	v_mul_lo_u32 v9, s8, v9
	v_add3_u32 v9, s10, v36, v9
	s_delay_alu instid0(VALU_DEP_1) | instskip(NEXT) | instid1(VALU_DEP_1)
	v_lshlrev_b64_e32 v[9:10], 3, v[9:10]
	v_add_co_u32 v9, s2, s4, v9
	s_wait_alu 0xf1ff
	s_delay_alu instid0(VALU_DEP_2)
	v_add_co_ci_u32_e64 v10, s2, s5, v10, s2
	global_load_b64 v[9:10], v[9:10], off
.LBB0_18:
	s_wait_alu 0xfffe
	s_or_b32 exec_lo, exec_lo, s3
	v_dual_mov_b32 v14, 0 :: v_dual_mov_b32 v15, 0
	v_mov_b32_e32 v16, 0
	s_and_saveexec_b32 s3, s11
	s_cbranch_execz .LBB0_20
; %bb.19:
	v_dual_mov_b32 v16, 0 :: v_dual_add_nc_u32 v13, 0x8c, v69
	s_delay_alu instid0(VALU_DEP_1) | instskip(NEXT) | instid1(VALU_DEP_1)
	v_mul_lo_u32 v13, s8, v13
	v_add3_u32 v15, s10, v36, v13
	s_delay_alu instid0(VALU_DEP_1) | instskip(NEXT) | instid1(VALU_DEP_1)
	v_lshlrev_b64_e32 v[15:16], 3, v[15:16]
	v_add_co_u32 v15, s2, s4, v15
	s_wait_alu 0xf1ff
	s_delay_alu instid0(VALU_DEP_2)
	v_add_co_ci_u32_e64 v16, s2, s5, v16, s2
	global_load_b64 v[15:16], v[15:16], off
.LBB0_20:
	s_wait_alu 0xfffe
	s_or_b32 exec_lo, exec_lo, s3
	v_mov_b32_e32 v13, 0
	s_and_saveexec_b32 s3, s11
	s_cbranch_execz .LBB0_22
; %bb.21:
	v_dual_mov_b32 v14, 0 :: v_dual_add_nc_u32 v13, 0xc8, v69
	s_delay_alu instid0(VALU_DEP_1) | instskip(NEXT) | instid1(VALU_DEP_1)
	v_mul_lo_u32 v13, s8, v13
	v_add3_u32 v13, s10, v36, v13
	s_delay_alu instid0(VALU_DEP_1) | instskip(NEXT) | instid1(VALU_DEP_1)
	v_lshlrev_b64_e32 v[13:14], 3, v[13:14]
	v_add_co_u32 v13, s2, s4, v13
	s_wait_alu 0xf1ff
	s_delay_alu instid0(VALU_DEP_2)
	v_add_co_ci_u32_e64 v14, s2, s5, v14, s2
	global_load_b64 v[13:14], v[13:14], off
.LBB0_22:
	s_wait_alu 0xfffe
	s_or_b32 exec_lo, exec_lo, s3
	v_dual_mov_b32 v18, 0 :: v_dual_add_nc_u32 v75, 40, v69
	v_dual_mov_b32 v20, 0 :: v_dual_mov_b32 v19, 0
	s_and_saveexec_b32 s3, s11
	s_cbranch_execz .LBB0_24
; %bb.23:
	s_delay_alu instid0(VALU_DEP_2) | instskip(SKIP_1) | instid1(VALU_DEP_2)
	v_mul_lo_u32 v17, s8, v75
	v_mov_b32_e32 v20, 0
	v_add3_u32 v19, s10, v36, v17
	s_delay_alu instid0(VALU_DEP_1) | instskip(NEXT) | instid1(VALU_DEP_1)
	v_lshlrev_b64_e32 v[19:20], 3, v[19:20]
	v_add_co_u32 v19, s2, s4, v19
	s_wait_alu 0xf1ff
	s_delay_alu instid0(VALU_DEP_2)
	v_add_co_ci_u32_e64 v20, s2, s5, v20, s2
	global_load_b64 v[19:20], v[19:20], off
.LBB0_24:
	s_wait_alu 0xfffe
	s_or_b32 exec_lo, exec_lo, s3
	v_mov_b32_e32 v17, 0
	s_and_saveexec_b32 s3, s11
	s_cbranch_execz .LBB0_26
; %bb.25:
	v_dual_mov_b32 v18, 0 :: v_dual_add_nc_u32 v17, 0x64, v69
	s_delay_alu instid0(VALU_DEP_1) | instskip(NEXT) | instid1(VALU_DEP_1)
	v_mul_lo_u32 v17, s8, v17
	v_add3_u32 v17, s10, v36, v17
	s_delay_alu instid0(VALU_DEP_1) | instskip(NEXT) | instid1(VALU_DEP_1)
	v_lshlrev_b64_e32 v[17:18], 3, v[17:18]
	v_add_co_u32 v17, s2, s4, v17
	s_wait_alu 0xf1ff
	s_delay_alu instid0(VALU_DEP_2)
	v_add_co_ci_u32_e64 v18, s2, s5, v18, s2
	global_load_b64 v[17:18], v[17:18], off
.LBB0_26:
	s_wait_alu 0xfffe
	s_or_b32 exec_lo, exec_lo, s3
	s_load_b64 s[6:7], s[0:1], 0x0
	v_dual_mov_b32 v22, 0 :: v_dual_mov_b32 v23, 0
	v_mov_b32_e32 v24, 0
	s_and_saveexec_b32 s3, s11
	s_cbranch_execz .LBB0_28
; %bb.27:
	v_or_b32_e32 v21, 0xa0, v69
	v_mov_b32_e32 v24, 0
	s_delay_alu instid0(VALU_DEP_2) | instskip(NEXT) | instid1(VALU_DEP_1)
	v_mul_lo_u32 v21, s8, v21
	v_add3_u32 v23, s10, v36, v21
	s_delay_alu instid0(VALU_DEP_1) | instskip(NEXT) | instid1(VALU_DEP_1)
	v_lshlrev_b64_e32 v[23:24], 3, v[23:24]
	v_add_co_u32 v23, s2, s4, v23
	s_wait_alu 0xf1ff
	s_delay_alu instid0(VALU_DEP_2)
	v_add_co_ci_u32_e64 v24, s2, s5, v24, s2
	global_load_b64 v[23:24], v[23:24], off
.LBB0_28:
	s_wait_alu 0xfffe
	s_or_b32 exec_lo, exec_lo, s3
	v_mov_b32_e32 v21, 0
	s_and_saveexec_b32 s3, s11
	s_cbranch_execz .LBB0_30
; %bb.29:
	v_dual_mov_b32 v22, 0 :: v_dual_add_nc_u32 v21, 0xdc, v69
	s_delay_alu instid0(VALU_DEP_1) | instskip(NEXT) | instid1(VALU_DEP_1)
	v_mul_lo_u32 v21, s8, v21
	v_add3_u32 v21, s10, v36, v21
	s_delay_alu instid0(VALU_DEP_1) | instskip(NEXT) | instid1(VALU_DEP_1)
	v_lshlrev_b64_e32 v[21:22], 3, v[21:22]
	v_add_co_u32 v21, s2, s4, v21
	s_wait_alu 0xf1ff
	s_delay_alu instid0(VALU_DEP_2)
	v_add_co_ci_u32_e64 v22, s2, s5, v22, s2
	global_load_b64 v[21:22], v[21:22], off
.LBB0_30:
	s_wait_alu 0xfffe
	s_or_b32 exec_lo, exec_lo, s3
	s_wait_loadcnt 0x0
	v_dual_sub_f32 v27, v3, v7 :: v_dual_sub_f32 v28, v4, v8
	v_dual_sub_f32 v5, v1, v5 :: v_dual_sub_f32 v6, v2, v6
	;; [unrolled: 1-line block ×3, first 2 shown]
	v_sub_f32_e32 v15, v9, v13
	v_dual_sub_f32 v13, v10, v14 :: v_dual_sub_f32 v24, v20, v24
	s_delay_alu instid0(VALU_DEP_4) | instskip(NEXT) | instid1(VALU_DEP_4)
	v_fma_f32 v2, v2, 2.0, -v6
	v_fma_f32 v14, v11, 2.0, -v29
	;; [unrolled: 1-line block ×3, first 2 shown]
	v_sub_f32_e32 v6, v27, v6
	v_fma_f32 v8, v9, 2.0, -v15
	v_fma_f32 v9, v10, 2.0, -v13
	v_fma_f32 v3, v3, 2.0, -v27
	v_add_f32_e32 v7, v28, v5
	v_fma_f32 v10, v27, 2.0, -v6
	s_delay_alu instid0(VALU_DEP_4) | instskip(SKIP_3) | instid1(VALU_DEP_4)
	v_dual_sub_f32 v8, v14, v8 :: v_dual_sub_f32 v9, v16, v9
	v_dual_sub_f32 v22, v18, v22 :: v_dual_sub_f32 v27, v19, v23
	v_fma_f32 v4, v4, 2.0, -v28
	v_fma_f32 v11, v28, 2.0, -v7
	;; [unrolled: 1-line block ×3, first 2 shown]
	v_dual_sub_f32 v14, v29, v13 :: v_dual_add_f32 v15, v30, v15
	v_sub_f32_e32 v21, v17, v21
	v_fma_f32 v23, v19, 2.0, -v27
	v_mul_u32_u24_e32 v19, 48, v69
	v_fma_f32 v28, v20, 2.0, -v24
	v_fma_f32 v20, v18, 2.0, -v22
	;; [unrolled: 1-line block ×5, first 2 shown]
	v_lshlrev_b32_e32 v29, 3, v19
	v_dual_sub_f32 v19, v28, v20 :: v_dual_sub_f32 v20, v27, v22
	v_fma_f32 v5, v17, 2.0, -v21
	v_add_f32_e32 v21, v24, v21
	v_dual_sub_f32 v1, v3, v1 :: v_dual_sub_f32 v2, v4, v2
	v_fma_f32 v17, v30, 2.0, -v15
	s_delay_alu instid0(VALU_DEP_4)
	v_dual_sub_f32 v18, v23, v5 :: v_dual_lshlrev_b32 v5, 3, v26
	v_fma_f32 v26, v27, 2.0, -v20
	v_fma_f32 v27, v24, 2.0, -v21
	v_and_b32_e32 v24, 3, v69
	v_fma_f32 v3, v3, 2.0, -v1
	v_add3_u32 v29, 0, v29, v5
	v_fma_f32 v4, v4, 2.0, -v2
	v_fma_f32 v22, v23, 2.0, -v18
	;; [unrolled: 1-line block ×3, first 2 shown]
	s_mov_b32 s3, exec_lo
	ds_store_2addr_b64 v29, v[1:2], v[6:7] offset0:24 offset1:36
	v_mul_u32_u24_e32 v1, 3, v24
	v_add_nc_u32_e32 v28, 0x1800, v29
	ds_store_2addr_b64 v29, v[3:4], v[10:11] offset1:12
	v_add_nc_u32_e32 v3, 0x3800, v29
	ds_store_2addr_b64 v28, v[12:13], v[16:17] offset0:192 offset1:204
	ds_store_2addr_b64 v28, v[8:9], v[14:15] offset0:216 offset1:228
	;; [unrolled: 1-line block ×4, first 2 shown]
	v_lshlrev_b32_e32 v6, 3, v1
	global_wb scope:SCOPE_SE
	s_wait_dscnt 0x0
	s_wait_kmcnt 0x0
	s_barrier_signal -1
	s_barrier_wait -1
	global_inv scope:SCOPE_SE
	s_clause 0x1
	global_load_b128 v[1:4], v6, s[6:7]
	global_load_b64 v[20:21], v6, s[6:7] offset:16
	v_lshlrev_b32_e32 v6, 2, v69
	v_lshlrev_b32_e32 v8, 2, v76
	;; [unrolled: 1-line block ×3, first 2 shown]
	v_mul_i32_i24_e32 v7, 0xfffffee0, v76
	v_mul_i32_i24_e32 v16, 0xfffffee0, v75
	v_and_or_b32 v10, 0x70, v6, v24
	v_mad_i32_i24 v6, 0xfffffee0, v69, v29
	v_and_or_b32 v8, 0xf0, v8, v24
	v_and_or_b32 v9, 0x1f0, v9, v24
	v_add3_u32 v48, 0x1e00, v29, v7
	v_mul_u32_u24_e32 v28, 0x60, v10
	v_add_nc_u32_e32 v42, 0x1680, v6
	v_mul_u32_u24_e32 v30, 0x60, v8
	v_mul_u32_u24_e32 v31, 0x60, v9
	v_add_nc_u32_e32 v47, 0x4800, v6
	v_add3_u32 v7, 0x3c00, v29, v16
	ds_load_2addr_b64 v[8:11], v42 offset1:240
	v_add_nc_u32_e32 v43, 0x2580, v6
	v_add3_u32 v45, 0, v28, v5
	v_add3_u32 v46, 0, v30, v5
	;; [unrolled: 1-line block ×3, first 2 shown]
	s_wait_loadcnt_dscnt 0x100
	v_dual_mul_f32 v57, v2, v10 :: v_dual_and_b32 v40, 15, v75
	v_mul_f32_e32 v56, v2, v11
	ds_load_2addr_b64 v[12:15], v43 offset1:240
	ds_load_b64 v[22:23], v6
	ds_load_b64 v[26:27], v6 offset:17280
	ds_load_2addr_b32 v[28:29], v47 offset0:192 offset1:193
	v_add_nc_u32_e32 v44, 0x3480, v6
	v_and_b32_e32 v32, 15, v69
	v_dual_mul_f32 v50, v2, v9 :: v_dual_and_b32 v39, 15, v76
	v_mul_f32_e32 v51, v2, v8
	v_fma_f32 v10, v1, v10, -v56
	s_delay_alu instid0(VALU_DEP_3)
	v_fma_f32 v8, v1, v8, -v50
	s_wait_dscnt 0x3
	v_mul_f32_e32 v52, v4, v15
	s_wait_loadcnt_dscnt 0x1
	v_dual_mul_f32 v53, v4, v14 :: v_dual_mul_f32 v54, v21, v27
	s_wait_dscnt 0x0
	v_mul_f32_e32 v61, v21, v28
	ds_load_2addr_b64 v[16:19], v44 offset1:240
	ds_load_b64 v[30:31], v48
	ds_load_b64 v[34:35], v7
	ds_load_b64 v[37:38], v6 offset:21120
	v_dual_mul_f32 v60, v29, v21 :: v_dual_lshlrev_b32 v41, 4, v39
	v_dual_mul_f32 v55, v21, v26 :: v_dual_lshlrev_b32 v24, 4, v32
	v_mul_f32_e32 v63, v12, v2
	v_dual_mul_f32 v62, v13, v2 :: v_dual_fmac_f32 v53, v3, v15
	s_delay_alu instid0(VALU_DEP_3) | instskip(SKIP_2) | instid1(VALU_DEP_4)
	v_fmac_f32_e32 v55, v20, v27
	v_fmac_f32_e32 v57, v1, v11
	v_fma_f32 v15, v20, v28, -v60
	v_fma_f32 v12, v12, v1, -v62
	global_wb scope:SCOPE_SE
	s_wait_dscnt 0x0
	s_barrier_signal -1
	s_barrier_wait -1
	global_inv scope:SCOPE_SE
	v_mul_f32_e32 v58, v4, v17
	v_mul_f32_e32 v59, v4, v16
	v_mul_f32_e32 v2, v19, v4
	v_mul_f32_e32 v4, v18, v4
	v_mul_f32_e32 v64, v38, v21
	v_mul_f32_e32 v21, v37, v21
	v_fmac_f32_e32 v51, v1, v9
	v_fma_f32 v9, v3, v14, -v52
	v_fmac_f32_e32 v4, v19, v3
	v_fma_f32 v14, v20, v26, -v54
	v_fma_f32 v11, v3, v16, -v58
	v_fmac_f32_e32 v63, v13, v1
	v_fma_f32 v1, v18, v3, -v2
	v_sub_f32_e32 v26, v35, v4
	v_fma_f32 v2, v37, v20, -v64
	v_sub_f32_e32 v16, v23, v53
	v_fmac_f32_e32 v59, v3, v17
	v_sub_f32_e32 v3, v8, v14
	v_sub_f32_e32 v17, v30, v11
	;; [unrolled: 1-line block ×4, first 2 shown]
	v_add_nc_u32_e32 v52, 0x3600, v6
	v_dual_add_f32 v2, v16, v3 :: v_dual_fmac_f32 v61, v29, v20
	v_dual_sub_f32 v18, v31, v59 :: v_dual_fmac_f32 v21, v38, v20
	v_sub_f32_e32 v20, v34, v1
	v_fma_f32 v23, v23, 2.0, -v16
	s_delay_alu instid0(VALU_DEP_4)
	v_sub_f32_e32 v14, v57, v61
	v_fma_f32 v28, v30, 2.0, -v17
	v_sub_f32_e32 v19, v63, v21
	v_sub_f32_e32 v13, v22, v9
	v_fma_f32 v21, v8, 2.0, -v3
	v_fma_f32 v30, v10, 2.0, -v11
	;; [unrolled: 1-line block ×3, first 2 shown]
	v_sub_f32_e32 v8, v20, v19
	v_fma_f32 v22, v22, 2.0, -v13
	v_sub_f32_e32 v9, v51, v55
	v_fma_f32 v31, v57, 2.0, -v14
	v_add_f32_e32 v4, v18, v11
	v_fma_f32 v34, v34, 2.0, -v20
	v_sub_f32_e32 v10, v22, v21
	v_fma_f32 v27, v51, 2.0, -v9
	v_sub_f32_e32 v1, v13, v9
	v_fma_f32 v35, v35, 2.0, -v26
	v_fma_f32 v37, v12, 2.0, -v15
	v_sub_f32_e32 v3, v17, v14
	v_fma_f32 v38, v63, 2.0, -v19
	v_sub_f32_e32 v11, v23, v27
	v_dual_add_f32 v9, v26, v15 :: v_dual_sub_f32 v14, v28, v30
	v_sub_f32_e32 v15, v29, v31
	v_fma_f32 v12, v13, 2.0, -v1
	v_fma_f32 v13, v16, 2.0, -v2
	;; [unrolled: 1-line block ×4, first 2 shown]
	v_dual_sub_f32 v18, v34, v37 :: v_dual_sub_f32 v19, v35, v38
	v_fma_f32 v22, v22, 2.0, -v10
	v_fma_f32 v23, v23, 2.0, -v11
	;; [unrolled: 1-line block ×8, first 2 shown]
	ds_store_2addr_b64 v45, v[10:11], v[1:2] offset0:96 offset1:144
	ds_store_2addr_b64 v45, v[22:23], v[12:13] offset1:48
	ds_store_2addr_b64 v46, v[26:27], v[16:17] offset1:48
	ds_store_2addr_b64 v46, v[14:15], v[3:4] offset0:96 offset1:144
	ds_store_2addr_b64 v49, v[28:29], v[20:21] offset1:48
	ds_store_2addr_b64 v49, v[18:19], v[8:9] offset0:96 offset1:144
	v_and_b32_e32 v1, 15, v25
	v_lshlrev_b32_e32 v2, 4, v40
	global_wb scope:SCOPE_SE
	s_wait_dscnt 0x0
	s_barrier_signal -1
	s_barrier_wait -1
	v_lshlrev_b32_e32 v3, 4, v1
	global_inv scope:SCOPE_SE
	s_clause 0x3
	global_load_b128 v[8:11], v24, s[6:7] offset:96
	global_load_b128 v[12:15], v41, s[6:7] offset:96
	;; [unrolled: 1-line block ×4, first 2 shown]
	v_lshrrev_b32_e32 v3, 4, v76
	v_lshrrev_b32_e32 v4, 4, v75
	v_add_nc_u32_e32 v37, 0x4380, v6
	v_lshrrev_b32_e32 v24, 4, v25
	v_lshrrev_b32_e32 v2, 4, v69
	v_mul_u32_u24_e32 v3, 48, v3
	v_mul_u32_u24_e32 v4, 48, v4
	s_delay_alu instid0(VALU_DEP_4) | instskip(NEXT) | instid1(VALU_DEP_4)
	v_mul_u32_u24_e32 v24, 48, v24
	v_mul_u32_u24_e32 v2, 48, v2
	s_delay_alu instid0(VALU_DEP_4) | instskip(NEXT) | instid1(VALU_DEP_4)
	v_or_b32_e32 v3, v3, v39
	v_or_b32_e32 v4, v4, v40
	ds_load_2addr_b64 v[37:40], v37 offset1:240
	v_or_b32_e32 v2, v2, v32
	v_mul_u32_u24_e32 v34, 0x60, v3
	v_mul_u32_u24_e32 v35, 0x60, v4
	s_delay_alu instid0(VALU_DEP_3) | instskip(NEXT) | instid1(VALU_DEP_3)
	v_mul_u32_u24_e32 v32, 0x60, v2
	v_add3_u32 v49, 0, v34, v5
	s_delay_alu instid0(VALU_DEP_3) | instskip(NEXT) | instid1(VALU_DEP_3)
	v_add3_u32 v50, 0, v35, v5
	v_add3_u32 v32, 0, v32, v5
	s_wait_loadcnt_dscnt 0x200
	v_mul_f32_e32 v56, v15, v38
	s_wait_loadcnt 0x1
	v_mul_f32_e32 v58, v40, v19
	v_or_b32_e32 v28, v24, v1
	ds_load_2addr_b64 v[24:27], v44 offset1:240
	ds_load_2addr_b64 v[1:4], v42 offset1:240
	v_mul_f32_e32 v15, v15, v37
	v_mul_u32_u24_e32 v41, 0x60, v28
	ds_load_2addr_b64 v[28:31], v43 offset1:240
	v_fmac_f32_e32 v15, v14, v38
	v_add3_u32 v5, 0, v41, v5
	ds_load_b64 v[41:42], v6
	ds_load_b64 v[43:44], v48
	;; [unrolled: 1-line block ×3, first 2 shown]
	ds_load_b64 v[34:35], v6 offset:21120
	global_wb scope:SCOPE_SE
	s_wait_loadcnt_dscnt 0x0
	s_barrier_signal -1
	s_barrier_wait -1
	global_inv scope:SCOPE_SE
	v_mul_f32_e32 v59, v25, v21
	v_dual_mul_f32 v21, v24, v21 :: v_dual_mul_f32 v54, v11, v27
	v_mul_f32_e32 v55, v13, v29
	v_mul_f32_e32 v57, v17, v31
	v_mul_f32_e32 v17, v17, v30
	s_delay_alu instid0(VALU_DEP_4) | instskip(SKIP_1) | instid1(VALU_DEP_3)
	v_fmac_f32_e32 v21, v25, v20
	v_dual_mul_f32 v13, v13, v28 :: v_dual_mul_f32 v60, v35, v23
	v_fmac_f32_e32 v17, v16, v31
	s_delay_alu instid0(VALU_DEP_2) | instskip(SKIP_1) | instid1(VALU_DEP_3)
	v_fmac_f32_e32 v13, v12, v29
	v_mul_f32_e32 v53, v9, v4
	v_dual_mul_f32 v9, v9, v3 :: v_dual_add_f32 v38, v46, v17
	s_delay_alu instid0(VALU_DEP_3) | instskip(NEXT) | instid1(VALU_DEP_3)
	v_sub_f32_e32 v29, v13, v15
	v_fma_f32 v3, v8, v3, -v53
	s_delay_alu instid0(VALU_DEP_3)
	v_fmac_f32_e32 v9, v8, v4
	v_fma_f32 v8, v12, v28, -v55
	v_fma_f32 v12, v16, v30, -v57
	v_mul_f32_e32 v11, v11, v26
	v_fma_f32 v4, v10, v26, -v54
	v_add_f32_e32 v54, v2, v21
	v_dual_add_f32 v30, v44, v13 :: v_dual_add_f32 v13, v13, v15
	s_delay_alu instid0(VALU_DEP_4)
	v_fmac_f32_e32 v11, v10, v27
	v_fma_f32 v10, v14, v37, -v56
	v_fma_f32 v14, v39, v18, -v58
	v_mul_f32_e32 v19, v39, v19
	v_add_f32_e32 v27, v43, v8
	v_dual_sub_f32 v26, v3, v4 :: v_dual_add_nc_u32 v51, 0x2400, v6
	s_delay_alu instid0(VALU_DEP_4) | instskip(NEXT) | instid1(VALU_DEP_4)
	v_sub_f32_e32 v39, v12, v14
	v_fmac_f32_e32 v19, v40, v18
	v_fma_f32 v18, v34, v22, -v60
	v_add_f32_e32 v28, v8, v10
	s_delay_alu instid0(VALU_DEP_3) | instskip(SKIP_2) | instid1(VALU_DEP_4)
	v_dual_fmac_f32 v44, -0.5, v13 :: v_dual_sub_f32 v37, v17, v19
	v_add_f32_e32 v17, v17, v19
	v_dual_mul_f32 v23, v34, v23 :: v_dual_add_f32 v34, v45, v12
	v_fma_f32 v43, -0.5, v28, v43
	s_delay_alu instid0(VALU_DEP_2) | instskip(NEXT) | instid1(VALU_DEP_1)
	v_dual_fmac_f32 v46, -0.5, v17 :: v_dual_fmac_f32 v23, v35, v22
	v_dual_add_f32 v22, v3, v4 :: v_dual_sub_f32 v53, v21, v23
	v_add_f32_e32 v35, v12, v14
	v_add_f32_e32 v21, v21, v23
	;; [unrolled: 1-line block ×3, first 2 shown]
	s_delay_alu instid0(VALU_DEP_3)
	v_fma_f32 v45, -0.5, v35, v45
	v_sub_f32_e32 v31, v8, v10
	v_add_f32_e32 v8, v27, v10
	v_fma_f32 v16, v24, v20, -v59
	v_add_f32_e32 v20, v41, v3
	v_fma_f32 v41, -0.5, v22, v41
	v_fmac_f32_e32 v2, -0.5, v21
	v_add_f32_e32 v10, v34, v14
	v_add_f32_e32 v12, v1, v16
	;; [unrolled: 1-line block ×3, first 2 shown]
	v_sub_f32_e32 v55, v16, v18
	v_dual_add_f32 v3, v20, v4 :: v_dual_fmamk_f32 v16, v29, 0x3f5db3d7, v43
	s_delay_alu instid0(VALU_DEP_4)
	v_add_f32_e32 v12, v12, v18
	v_fmamk_f32 v18, v37, 0x3f5db3d7, v45
	v_dual_sub_f32 v24, v9, v11 :: v_dual_add_f32 v25, v42, v9
	v_add_f32_e32 v9, v9, v11
	v_fma_f32 v1, -0.5, v40, v1
	v_fmamk_f32 v17, v31, 0xbf5db3d7, v44
	s_delay_alu instid0(VALU_DEP_4)
	v_fmamk_f32 v14, v24, 0x3f5db3d7, v41
	v_add_f32_e32 v4, v25, v11
	v_fmac_f32_e32 v42, -0.5, v9
	v_fmac_f32_e32 v44, 0x3f5db3d7, v31
	v_add_f32_e32 v9, v30, v15
	v_fmac_f32_e32 v41, 0xbf5db3d7, v24
	v_fmac_f32_e32 v43, 0xbf5db3d7, v29
	v_fmamk_f32 v15, v26, 0xbf5db3d7, v42
	v_dual_fmac_f32 v42, 0x3f5db3d7, v26 :: v_dual_add_f32 v11, v38, v19
	v_fmamk_f32 v19, v39, 0xbf5db3d7, v46
	v_fmac_f32_e32 v45, 0xbf5db3d7, v37
	v_fmac_f32_e32 v46, 0x3f5db3d7, v39
	v_fmamk_f32 v34, v53, 0x3f5db3d7, v1
	v_fmac_f32_e32 v1, 0xbf5db3d7, v53
	v_fmamk_f32 v35, v55, 0xbf5db3d7, v2
	v_fmac_f32_e32 v2, 0x3f5db3d7, v55
	ds_store_2addr_stride64_b64 v32, v[3:4], v[14:15] offset1:3
	ds_store_b64 v32, v[41:42] offset:3072
	ds_store_2addr_stride64_b64 v49, v[8:9], v[16:17] offset1:3
	ds_store_b64 v49, v[43:44] offset:3072
	ds_store_2addr_stride64_b64 v50, v[10:11], v[18:19] offset1:3
	ds_store_b64 v50, v[45:46] offset:3072
	ds_store_2addr_stride64_b64 v5, v[12:13], v[34:35] offset1:3
	ds_store_b64 v5, v[1:2] offset:3072
	global_wb scope:SCOPE_SE
	s_wait_dscnt 0x0
	s_barrier_signal -1
	s_barrier_wait -1
	global_inv scope:SCOPE_SE
	ds_load_2addr_stride64_b64 v[17:20], v6 offset1:9
	ds_load_2addr_b64 v[21:24], v51 offset1:240
	ds_load_2addr_b64 v[25:28], v52 offset1:240
	;; [unrolled: 1-line block ×3, first 2 shown]
	ds_load_b64 v[67:68], v48
	ds_load_b64 v[71:72], v6 offset:6528
                                        ; implicit-def: $vgpr8
	v_cmpx_gt_u32_e32 0x60, v0
	s_cbranch_execz .LBB0_32
; %bb.31:
	v_add_nc_u32_e32 v5, 0x100, v6
	ds_load_b64 v[34:35], v7
	ds_load_2addr_stride64_b64 v[1:4], v5 offset0:16 offset1:25
	ds_load_2addr_stride64_b64 v[5:8], v5 offset0:34 offset1:43
.LBB0_32:
	s_wait_alu 0xfffe
	s_or_b32 exec_lo, exec_lo, s3
	v_mul_lo_u16 v9, v75, 43
	s_load_b64 s[2:3], s[0:1], 0x8
	v_add_nc_u32_e32 v36, s10, v36
	s_delay_alu instid0(VALU_DEP_2) | instskip(NEXT) | instid1(VALU_DEP_1)
	v_lshrrev_b16 v77, 11, v9
	v_mul_lo_u16 v9, v77, 48
	s_delay_alu instid0(VALU_DEP_1) | instskip(NEXT) | instid1(VALU_DEP_1)
	v_sub_nc_u16 v9, v75, v9
	v_and_b32_e32 v9, 0xff, v9
	s_delay_alu instid0(VALU_DEP_1)
	v_add_nc_u32_e32 v38, 48, v9
	v_mul_lo_u32 v37, v33, v9
	v_add_nc_u32_e32 v39, 0x60, v9
	v_add_nc_u32_e32 v40, 0x90, v9
	v_or_b32_e32 v41, 0xc0, v9
	v_mul_lo_u32 v38, v33, v38
	v_lshlrev_b32_e32 v13, 5, v9
	v_mul_lo_u32 v39, v33, v39
	v_mul_lo_u32 v40, v33, v40
	v_and_b32_e32 v42, 0xff, v37
	v_lshrrev_b32_e32 v43, 5, v37
	v_lshrrev_b32_e32 v37, 13, v37
	v_mul_lo_u32 v41, v33, v41
	v_and_b32_e32 v44, 0xff, v38
	v_lshrrev_b32_e32 v45, 5, v38
	v_lshrrev_b32_e32 v38, 13, v38
	v_lshlrev_b32_e32 v42, 3, v42
	v_and_b32_e32 v46, 0xff, v39
	v_lshrrev_b32_e32 v47, 5, v39
	v_and_b32_e32 v43, 0x7f8, v43
	v_lshrrev_b32_e32 v39, 13, v39
	v_and_b32_e32 v37, 0x7f8, v37
	v_and_b32_e32 v48, 0xff, v40
	v_lshrrev_b32_e32 v53, 5, v40
	v_lshlrev_b32_e32 v44, 3, v44
	v_lshrrev_b32_e32 v40, 13, v40
	v_and_b32_e32 v45, 0x7f8, v45
	v_and_b32_e32 v38, 0x7f8, v38
	s_clause 0x1
	global_load_b128 v[9:12], v13, s[6:7] offset:368
	global_load_b128 v[13:16], v13, s[6:7] offset:352
	v_and_b32_e32 v54, 0xff, v41
	v_lshlrev_b32_e32 v46, 3, v46
	v_and_b32_e32 v47, 0x7f8, v47
	s_wait_kmcnt 0x0
	s_clause 0x7
	global_load_b64 v[63:64], v42, s[2:3]
	global_load_b64 v[65:66], v43, s[2:3] offset:2048
	global_load_b64 v[61:62], v37, s[2:3] offset:4096
	global_load_b64 v[57:58], v44, s[2:3]
	global_load_b64 v[59:60], v45, s[2:3] offset:2048
	global_load_b64 v[49:50], v38, s[2:3] offset:4096
	global_load_b64 v[51:52], v46, s[2:3]
	global_load_b64 v[55:56], v47, s[2:3] offset:2048
	v_lshrrev_b32_e32 v37, 5, v41
	v_lshrrev_b32_e32 v38, 13, v41
	v_and_b32_e32 v39, 0x7f8, v39
	v_lshlrev_b32_e32 v48, 3, v48
	v_and_b32_e32 v41, 0x7f8, v53
	v_and_b32_e32 v40, 0x7f8, v40
	v_lshlrev_b32_e32 v42, 3, v54
	v_and_b32_e32 v37, 0x7f8, v37
	v_and_b32_e32 v38, 0x7f8, v38
	s_clause 0x6
	global_load_b64 v[53:54], v39, s[2:3] offset:4096
	global_load_b64 v[45:46], v48, s[2:3]
	global_load_b64 v[47:48], v41, s[2:3] offset:2048
	global_load_b64 v[39:40], v40, s[2:3] offset:4096
	global_load_b64 v[41:42], v42, s[2:3]
	global_load_b64 v[43:44], v37, s[2:3] offset:2048
	global_load_b64 v[37:38], v38, s[2:3] offset:4096
	s_and_saveexec_b32 s1, s11
	s_cbranch_execz .LBB0_34
; %bb.33:
	v_subrev_nc_u32_e32 v70, 48, v69
	v_cmp_gt_u32_e64 s0, 0x240, v0
	v_mul_lo_u16 v73, v76, 43
	s_delay_alu instid0(VALU_DEP_2) | instskip(SKIP_1) | instid1(VALU_DEP_3)
	v_cndmask_b32_e64 v153, v70, v69, s0
	v_mov_b32_e32 v70, 0
	v_lshrrev_b16 v78, 11, v73
	s_delay_alu instid0(VALU_DEP_3) | instskip(SKIP_1) | instid1(VALU_DEP_3)
	v_lshlrev_b32_e32 v69, 2, v153
	v_mul_lo_u32 v115, v33, v153
	v_mul_lo_u16 v79, v78, 48
	v_or_b32_e32 v80, 0xc0, v153
	v_add_nc_u32_e32 v81, 0x90, v153
	v_lshlrev_b64_e32 v[73:74], 3, v[69:70]
	s_delay_alu instid0(VALU_DEP_4) | instskip(NEXT) | instid1(VALU_DEP_4)
	v_sub_nc_u16 v79, v76, v79
	v_mul_lo_u32 v116, v33, v80
	s_delay_alu instid0(VALU_DEP_4)
	v_mul_lo_u32 v117, v33, v81
	v_lshrrev_b32_e32 v84, 5, v115
	v_add_co_u32 v73, s0, s6, v73
	s_wait_alu 0xf1ff
	v_add_co_ci_u32_e64 v74, s0, s7, v74, s0
	v_and_b32_e32 v127, 0xff, v79
	v_and_b32_e32 v89, 0x7f8, v84
	v_lshrrev_b32_e32 v99, 5, v116
	global_load_b128 v[79:82], v[73:74], off offset:368
	v_and_b32_e32 v83, 0xff, v115
	v_lshrrev_b32_e32 v101, 5, v117
	v_cmp_lt_u32_e64 s0, 0x23f, v0
	s_delay_alu instid0(VALU_DEP_3) | instskip(SKIP_4) | instid1(VALU_DEP_3)
	v_lshlrev_b32_e32 v88, 3, v83
	global_load_b128 v[83:86], v[73:74], off offset:352
	v_add_nc_u32_e32 v87, 48, v153
	v_and_b32_e32 v74, 0xff, v116
	v_add_nc_u32_e32 v69, 0x60, v153
	v_mul_lo_u32 v118, v33, v87
	s_delay_alu instid0(VALU_DEP_2) | instskip(NEXT) | instid1(VALU_DEP_2)
	v_mul_lo_u32 v69, v33, v69
	v_lshrrev_b32_e32 v104, 5, v118
	v_lshrrev_b32_e32 v123, 13, v118
	s_delay_alu instid0(VALU_DEP_3) | instskip(NEXT) | instid1(VALU_DEP_3)
	v_lshrrev_b32_e32 v102, 5, v69
	v_and_b32_e32 v113, 0x7f8, v104
	s_wait_loadcnt_dscnt 0x4
	v_mul_f32_e32 v157, v86, v21
	v_dual_mul_f32 v86, v86, v22 :: v_dual_lshlrev_b32 v73, 5, v127
	v_mul_f32_e32 v158, v84, v19
	v_mul_f32_e32 v84, v84, v20
	s_clause 0x1
	global_load_b64 v[95:96], v88, s[2:3]
	global_load_b64 v[97:98], v89, s[2:3] offset:2048
	v_and_b32_e32 v100, 0xff, v117
	s_clause 0x1
	global_load_b128 v[87:90], v73, s[6:7] offset:368
	global_load_b128 v[91:94], v73, s[6:7] offset:352
	v_and_b32_e32 v73, 0xff, v69
	v_and_b32_e32 v103, 0xff, v118
	v_lshlrev_b32_e32 v74, 3, v74
	v_and_b32_e32 v105, 0x7f8, v99
	v_and_b32_e32 v107, 0x7f8, v101
	;; [unrolled: 1-line block ×3, first 2 shown]
	v_mul_lo_u32 v143, v33, v127
	v_lshrrev_b32_e32 v69, 13, v69
	v_lshrrev_b32_e32 v117, 13, v117
	v_fma_f32 v19, v83, v19, -v84
	v_fma_f32 v21, v85, v21, -v86
	v_dual_fmac_f32 v157, v85, v22 :: v_dual_fmac_f32 v158, v83, v20
	v_lshrrev_b32_e32 v119, 5, v143
	s_wait_loadcnt 0x2
	v_dual_add_f32 v86, v17, v19 :: v_dual_mul_f32 v159, v96, v98
	v_lshlrev_b32_e32 v106, 3, v100
	s_wait_loadcnt 0x0
	v_dual_mul_f32 v98, v95, v98 :: v_dual_mul_f32 v163, v94, v23
	s_wait_dscnt 0x0
	v_dual_mul_f32 v162, v92, v71 :: v_dual_lshlrev_b32 v73, 3, v73
	v_mul_f32_e32 v160, v88, v27
	v_dual_mul_f32 v94, v94, v24 :: v_dual_lshlrev_b32 v111, 3, v103
	v_dual_mul_f32 v88, v88, v28 :: v_dual_mul_f32 v161, v90, v31
	v_mul_f32_e32 v90, v90, v32
	v_mul_f32_e32 v92, v92, v72
	s_clause 0x7
	global_load_b64 v[99:100], v74, s[2:3]
	global_load_b64 v[101:102], v105, s[2:3] offset:2048
	global_load_b64 v[103:104], v106, s[2:3]
	global_load_b64 v[105:106], v107, s[2:3] offset:2048
	;; [unrolled: 2-line block ×4, first 2 shown]
	v_lshrrev_b32_e32 v73, 13, v115
	v_lshrrev_b32_e32 v115, 13, v116
	v_and_b32_e32 v116, 0xff, v143
	v_and_b32_e32 v69, 0x7f8, v69
	;; [unrolled: 1-line block ×5, first 2 shown]
	v_lshlrev_b32_e32 v116, 3, v116
	v_dual_fmac_f32 v98, v97, v96 :: v_dual_and_b32 v119, 0x7f8, v117
	v_and_b32_e32 v121, 0x7f8, v115
	global_load_b64 v[73:74], v73, s[2:3] offset:4096
	v_add_nc_u32_e32 v128, 0x90, v127
	v_add_nc_u32_e32 v129, 0x60, v127
	v_lshrrev_b32_e32 v143, 13, v143
	v_fmac_f32_e32 v162, v91, v72
	v_fmac_f32_e32 v163, v93, v24
	v_mul_lo_u32 v145, v33, v128
	v_mul_lo_u32 v146, v33, v129
	v_dual_sub_f32 v24, v158, v157 :: v_dual_and_b32 v143, 0x7f8, v143
	v_fma_f32 v23, v93, v23, -v94
	v_sub_f32_e32 v94, v157, v158
	v_fma_f32 v27, v87, v27, -v88
	v_dual_fmac_f32 v160, v87, v28 :: v_dual_and_b32 v129, 0xff, v145
	v_and_b32_e32 v135, 0xff, v146
	v_lshrrev_b32_e32 v130, 5, v145
	v_lshrrev_b32_e32 v136, 5, v146
	;; [unrolled: 1-line block ×3, first 2 shown]
	v_lshlrev_b32_e32 v132, 3, v129
	v_lshlrev_b32_e32 v135, 3, v135
	v_and_b32_e32 v133, 0x7f8, v130
	v_and_b32_e32 v139, 0x7f8, v136
	v_fma_f32 v28, v89, v31, -v90
	v_sub_f32_e32 v90, v19, v21
	v_lshrrev_b32_e32 v146, 13, v146
	v_and_b32_e32 v145, 0x7f8, v145
	v_fma_f32 v31, v91, v71, -v92
	v_add_f32_e32 v85, v18, v158
	s_wait_loadcnt 0x7
	v_dual_fmac_f32 v161, v89, v32 :: v_dual_mul_f32 v20, v100, v102
	s_clause 0x4
	global_load_b64 v[115:116], v116, s[2:3]
	global_load_b64 v[117:118], v118, s[2:3] offset:2048
	global_load_b64 v[119:120], v119, s[2:3] offset:4096
	;; [unrolled: 1-line block ×4, first 2 shown]
	v_mul_f32_e32 v22, v99, v102
	global_load_b64 v[123:124], v69, s[2:3] offset:4096
	v_or_b32_e32 v69, 0xc0, v127
	v_add_nc_u32_e32 v127, 48, v127
	s_wait_loadcnt 0x7
	v_mul_f32_e32 v83, v111, v114
	v_dual_fmac_f32 v22, v100, v101 :: v_dual_and_b32 v149, 0x7f8, v146
	v_mul_lo_u32 v69, v33, v69
	v_mul_lo_u32 v33, v33, v127
	v_add_f32_e32 v100, v163, v160
	v_fma_f32 v20, v99, v101, -v20
	v_add_f32_e32 v102, v162, v161
	s_delay_alu instid0(VALU_DEP_3)
	v_fma_f32 v100, -0.5, v100, v68
	v_and_b32_e32 v127, 0xff, v69
	v_lshrrev_b32_e32 v128, 5, v69
	v_and_b32_e32 v137, 0xff, v33
	v_lshrrev_b32_e32 v138, 5, v33
	v_lshrrev_b32_e32 v69, 13, v69
	v_lshlrev_b32_e32 v127, 3, v127
	v_and_b32_e32 v131, 0x7f8, v128
	v_lshlrev_b32_e32 v140, 3, v137
	s_clause 0x3
	global_load_b64 v[127:128], v127, s[2:3]
	global_load_b64 v[129:130], v131, s[2:3] offset:2048
	global_load_b64 v[131:132], v132, s[2:3]
	global_load_b64 v[133:134], v133, s[2:3] offset:2048
	v_and_b32_e32 v141, 0x7f8, v138
	s_clause 0x4
	global_load_b64 v[135:136], v135, s[2:3]
	global_load_b64 v[137:138], v139, s[2:3] offset:2048
	global_load_b64 v[139:140], v140, s[2:3]
	global_load_b64 v[141:142], v141, s[2:3] offset:2048
	global_load_b64 v[143:144], v143, s[2:3] offset:4096
	v_and_b32_e32 v69, 0x7f8, v69
	s_clause 0x1
	global_load_b64 v[145:146], v145, s[2:3] offset:4096
	global_load_b64 v[147:148], v69, s[2:3] offset:4096
	v_lshrrev_b32_e32 v33, 13, v33
	v_fma_f32 v102, -0.5, v102, v68
	s_delay_alu instid0(VALU_DEP_2)
	v_and_b32_e32 v33, 0x7f8, v33
	s_clause 0x1
	global_load_b64 v[149:150], v149, s[2:3] offset:4096
	global_load_b64 v[151:152], v33, s[2:3] offset:4096
	s_wait_alu 0xf1ff
	v_cndmask_b32_e64 v33, 0, 0xf0, s0
	s_delay_alu instid0(VALU_DEP_1) | instskip(NEXT) | instid1(VALU_DEP_1)
	v_add_nc_u32_e32 v33, v153, v33
	v_add_nc_u32_e32 v69, 48, v33
	s_delay_alu instid0(VALU_DEP_1) | instskip(SKIP_3) | instid1(VALU_DEP_3)
	v_mad_co_u64_u32 v[155:156], null, s8, v69, v[36:37]
	v_mul_f32_e32 v156, v80, v25
	v_dual_mul_f32 v80, v80, v26 :: v_dual_mul_f32 v69, v82, v29
	v_mul_f32_e32 v82, v82, v30
	v_fmac_f32_e32 v156, v79, v26
	s_delay_alu instid0(VALU_DEP_3) | instskip(NEXT) | instid1(VALU_DEP_4)
	v_fma_f32 v25, v79, v25, -v80
	v_fmac_f32_e32 v69, v81, v30
	s_delay_alu instid0(VALU_DEP_4)
	v_fma_f32 v26, v81, v29, -v82
	v_mul_f32_e32 v29, v104, v106
	v_mul_f32_e32 v30, v103, v106
	v_dual_sub_f32 v106, v161, v160 :: v_dual_mul_f32 v81, v107, v110
	v_dual_mul_f32 v82, v112, v114 :: v_dual_add_f32 v71, v21, v25
	v_fma_f32 v79, v95, v97, -v159
	v_mul_f32_e32 v80, v108, v110
	v_add_f32_e32 v32, v157, v156
	v_add_f32_e32 v72, v158, v69
	v_dual_add_f32 v84, v19, v26 :: v_dual_sub_f32 v87, v69, v156
	v_sub_f32_e32 v92, v158, v69
	v_dual_sub_f32 v95, v156, v69 :: v_dual_sub_f32 v114, v27, v28
	v_sub_f32_e32 v96, v25, v26
	v_fma_f32 v29, v103, v105, -v29
	v_fmac_f32_e32 v30, v104, v105
	v_sub_f32_e32 v91, v26, v25
	v_fmac_f32_e32 v81, v108, v109
	v_fma_f32 v82, v111, v113, -v82
	v_fmac_f32_e32 v83, v112, v113
	v_dual_sub_f32 v99, v162, v163 :: v_dual_add_f32 v104, v68, v162
	v_sub_f32_e32 v108, v31, v28
	v_sub_f32_e32 v112, v163, v162
	;; [unrolled: 1-line block ×3, first 2 shown]
	v_dual_sub_f32 v19, v21, v19 :: v_dual_sub_f32 v158, v163, v160
	v_fma_f32 v71, -0.5, v71, v17
	v_sub_f32_e32 v88, v21, v25
	v_sub_f32_e32 v93, v157, v156
	v_fma_f32 v80, v107, v109, -v80
	v_add_f32_e32 v101, v23, v27
	v_add_f32_e32 v103, v31, v28
	;; [unrolled: 1-line block ×3, first 2 shown]
	v_sub_f32_e32 v110, v28, v27
	v_fma_f32 v32, -0.5, v32, v18
	v_fma_f32 v72, -0.5, v72, v18
	;; [unrolled: 1-line block ×3, first 2 shown]
	v_add_f32_e32 v17, v24, v87
	v_add_f32_e32 v18, v90, v91
	;; [unrolled: 1-line block ×3, first 2 shown]
	v_sub_f32_e32 v109, v31, v23
	v_sub_f32_e32 v31, v23, v31
	v_dual_add_f32 v19, v19, v96 :: v_dual_add_f32 v104, v104, v163
	v_add_f32_e32 v21, v86, v21
	v_sub_f32_e32 v107, v23, v27
	v_sub_f32_e32 v111, v162, v161
	v_add_f32_e32 v85, v85, v157
	v_mad_co_u64_u32 v[153:154], null, s8, v33, v[36:37]
	v_mov_b32_e32 v154, v70
	s_wait_loadcnt 0x11
	v_mul_f32_e32 v86, v116, v118
	v_dual_sub_f32 v113, v160, v161 :: v_dual_add_f32 v68, v99, v106
	s_wait_loadcnt 0xf
	v_mul_f32_e32 v90, v22, v122
	v_dual_mul_f32 v91, v20, v122 :: v_dual_mul_f32 v94, v30, v120
	s_wait_loadcnt 0xe
	v_dual_mul_f32 v95, v29, v120 :: v_dual_mul_f32 v122, v82, v126
	v_dual_mul_f32 v87, v115, v118 :: v_dual_fmamk_f32 v106, v92, 0xbf737871, v71
	s_wait_loadcnt 0xd
	v_dual_mul_f32 v97, v74, v98 :: v_dual_mul_f32 v96, v81, v124
	v_mul_f32_e32 v118, v80, v124
	v_mul_f32_e32 v120, v83, v126
	v_fma_f32 v101, -0.5, v101, v67
	v_fma_f32 v67, -0.5, v103, v67
	v_add_f32_e32 v103, v112, v113
	v_add_f32_e32 v23, v105, v23
	v_fma_f32 v90, v121, v20, -v90
	v_fma_f32 v29, v119, v29, -v94
	v_dual_fmac_f32 v122, v125, v83 :: v_dual_fmac_f32 v87, v116, v117
	v_fmamk_f32 v105, v89, 0x3f737871, v32
	v_dual_fmac_f32 v32, 0xbf737871, v89 :: v_dual_add_f32 v31, v31, v114
	v_fmamk_f32 v94, v108, 0x3f737871, v100
	v_fmac_f32_e32 v106, 0xbf167918, v93
	v_fmac_f32_e32 v118, v123, v81
	;; [unrolled: 1-line block ×3, first 2 shown]
	s_wait_loadcnt 0x9
	v_dual_mul_f32 v114, v131, v134 :: v_dual_add_f32 v21, v21, v25
	v_fmamk_f32 v25, v93, 0x3f737871, v84
	v_dual_fmac_f32 v84, 0xbf737871, v93 :: v_dual_add_f32 v99, v109, v110
	v_fmamk_f32 v109, v88, 0xbf737871, v72
	v_dual_fmac_f32 v72, 0x3f737871, v88 :: v_dual_mul_f32 v113, v132, v134
	s_wait_loadcnt 0x7
	v_mul_f32_e32 v20, v136, v138
	v_fmac_f32_e32 v95, v119, v30
	v_dual_add_f32 v83, v104, v160 :: v_dual_fmac_f32 v94, 0x3f167918, v107
	v_dual_mul_f32 v110, v128, v130 :: v_dual_add_f32 v85, v85, v156
	v_dual_fmac_f32 v91, v121, v22 :: v_dual_fmac_f32 v84, 0x3f167918, v92
	v_fma_f32 v30, v123, v80, -v96
	v_dual_mul_f32 v81, v135, v138 :: v_dual_fmac_f32 v32, 0xbf167918, v88
	v_fmamk_f32 v96, v107, 0xbf737871, v102
	v_fmac_f32_e32 v102, 0x3f737871, v107
	v_fmac_f32_e32 v109, 0x3f167918, v89
	;; [unrolled: 1-line block ×3, first 2 shown]
	v_fma_f32 v89, v135, v137, -v20
	v_fmac_f32_e32 v96, 0x3f167918, v108
	s_wait_loadcnt 0x4
	v_mul_f32_e32 v20, v87, v144
	v_dual_add_f32 v83, v83, v161 :: v_dual_fmac_f32 v106, 0x3e9e377a, v18
	v_dual_fmac_f32 v105, 0x3f167918, v88 :: v_dual_add_f32 v88, v21, v26
	v_fma_f32 v26, v131, v133, -v113
	v_dual_mul_f32 v112, v127, v130 :: v_dual_fmac_f32 v71, 0x3f737871, v92
	v_fmamk_f32 v104, v158, 0x3f737871, v67
	v_fma_f32 v21, v127, v129, -v110
	s_wait_loadcnt 0x3
	v_mul_f32_e32 v110, v26, v146
	v_dual_fmac_f32 v112, v128, v129 :: v_dual_fmac_f32 v25, 0xbf167918, v92
	v_fmac_f32_e32 v104, 0xbf167918, v111
	v_fma_f32 v86, v115, v117, -v86
	v_fma_f32 v80, v125, v82, -v120
	v_mul_f32_e32 v22, v140, v142
	v_mul_f32_e32 v82, v139, v142
	v_dual_add_f32 v23, v23, v27 :: v_dual_fmac_f32 v114, v132, v133
	v_fmamk_f32 v27, v111, 0xbf737871, v101
	v_dual_fmac_f32 v25, 0x3e9e377a, v19 :: v_dual_fmac_f32 v94, 0x3e9e377a, v68
	v_fmac_f32_e32 v71, 0x3f167918, v93
	v_fmac_f32_e32 v67, 0xbf737871, v158
	v_dual_fmac_f32 v81, v136, v137 :: v_dual_fmac_f32 v102, 0xbf167918, v108
	v_fma_f32 v92, v139, v141, -v22
	v_dual_fmac_f32 v82, v140, v141 :: v_dual_fmac_f32 v101, 0x3f737871, v111
	v_dual_mul_f32 v93, v86, v144 :: v_dual_fmac_f32 v100, 0xbf167918, v107
	v_dual_fmac_f32 v109, 0x3e9e377a, v24 :: v_dual_fmac_f32 v32, 0x3e9e377a, v17
	s_wait_loadcnt 0x2
	v_dual_fmac_f32 v27, 0xbf167918, v158 :: v_dual_mul_f32 v108, v21, v148
	v_fma_f32 v86, v143, v86, -v20
	v_dual_mul_f32 v20, v25, v95 :: v_dual_fmac_f32 v71, 0x3e9e377a, v18
	v_dual_fmac_f32 v96, 0x3e9e377a, v103 :: v_dual_add_f32 v107, v23, v28
	v_fmac_f32_e32 v84, 0x3e9e377a, v19
	v_fmac_f32_e32 v67, 0x3f167918, v111
	v_dual_fmac_f32 v72, 0x3e9e377a, v24 :: v_dual_mul_f32 v19, v114, v146
	s_wait_loadcnt 0x1
	v_dual_fmac_f32 v102, 0x3e9e377a, v103 :: v_dual_mul_f32 v23, v81, v150
	v_fmac_f32_e32 v100, 0x3e9e377a, v68
	s_wait_loadcnt 0x0
	v_dual_mul_f32 v28, v82, v152 :: v_dual_fmac_f32 v101, 0x3f167918, v158
	v_fmac_f32_e32 v108, v147, v112
	v_dual_mul_f32 v113, v92, v152 :: v_dual_mul_f32 v24, v71, v122
	v_dual_fmac_f32 v93, v143, v87 :: v_dual_fmac_f32 v110, v145, v114
	v_dual_mul_f32 v111, v89, v150 :: v_dual_mul_f32 v18, v106, v91
	v_fmac_f32_e32 v105, 0x3e9e377a, v17
	v_dual_mul_f32 v17, v112, v148 :: v_dual_fmac_f32 v104, 0x3e9e377a, v31
	v_mul_f32_e32 v68, v109, v95
	v_fmac_f32_e32 v27, 0x3e9e377a, v99
	v_dual_fmac_f32 v101, 0x3e9e377a, v99 :: v_dual_fmac_f32 v20, v109, v29
	v_dual_mul_f32 v22, v84, v118 :: v_dual_fmac_f32 v67, 0x3e9e377a, v31
	v_fmac_f32_e32 v18, v105, v90
	v_mul_f32_e32 v31, v105, v91
	v_fma_f32 v95, v147, v21, -v17
	s_delay_alu instid0(VALU_DEP_4)
	v_fmac_f32_e32 v22, v72, v30
	v_fma_f32 v99, v145, v26, -v19
	v_fmac_f32_e32 v113, v151, v82
	v_mul_f32_e32 v26, v107, v93
	v_dual_fmac_f32 v111, v149, v81 :: v_dual_fmac_f32 v24, v32, v80
	v_mul_f32_e32 v91, v32, v122
	v_fma_f32 v81, v151, v92, -v28
	v_mul_f32_e32 v82, v83, v93
	s_delay_alu instid0(VALU_DEP_4)
	v_dual_mul_f32 v32, v67, v111 :: v_dual_mul_f32 v87, v72, v118
	v_mul_f32_e32 v28, v27, v108
	v_mul_f32_e32 v74, v74, v79
	v_fma_f32 v89, v149, v89, -v23
	v_fma_f32 v17, v106, v90, -v31
	;; [unrolled: 1-line block ×4, first 2 shown]
	v_mul_f32_e32 v29, v94, v108
	v_dual_fmac_f32 v28, v94, v95 :: v_dual_mul_f32 v31, v96, v110
	v_dual_mul_f32 v68, v101, v113 :: v_dual_mul_f32 v71, v102, v111
	v_mul_f32_e32 v72, v100, v113
	v_fmac_f32_e32 v74, v73, v98
	v_fma_f32 v21, v84, v30, -v87
	v_mul_f32_e32 v30, v104, v110
	v_fma_f32 v27, v27, v95, -v29
	v_fma_f32 v29, v104, v99, -v31
	;; [unrolled: 1-line block ×4, first 2 shown]
	v_lshlrev_b64_e32 v[71:72], 3, v[153:154]
	v_dual_fmac_f32 v26, v83, v86 :: v_dual_add_f32 v69, v85, v69
	v_fmac_f32_e32 v32, v102, v89
	v_fma_f32 v83, v73, v79, -v97
	v_mul_f32_e32 v73, v88, v74
	v_fmac_f32_e32 v30, v96, v99
	v_fmac_f32_e32 v68, v100, v81
	v_mov_b32_e32 v156, v70
	v_add_co_u32 v81, s0, s4, v71
	v_fmac_f32_e32 v73, v69, v83
	v_dual_mul_f32 v74, v69, v74 :: v_dual_add_nc_u32 v71, 0x90, v33
	v_add_nc_u32_e32 v69, 0x60, v33
	v_fma_f32 v25, v107, v86, -v82
	s_wait_alu 0xf1ff
	v_add_co_ci_u32_e64 v82, s0, s5, v72, s0
	v_fma_f32 v72, v88, v83, -v74
	v_mad_co_u64_u32 v[83:84], null, s8, v69, v[36:37]
	v_add_nc_u32_e32 v33, 0xc0, v33
	v_lshlrev_b64_e32 v[79:80], 3, v[155:156]
	v_dual_mov_b32 v84, v70 :: v_dual_and_b32 v69, 0xffff, v78
	global_store_b64 v[81:82], v[72:73], off
	v_mad_co_u64_u32 v[73:74], null, s8, v33, v[36:37]
	v_add_co_u32 v79, s0, s4, v79
	v_mul_u32_u24_e32 v33, 0xc0, v69
	s_wait_alu 0xf1ff
	v_add_co_ci_u32_e64 v80, s0, s5, v80, s0
	v_mad_co_u64_u32 v[71:72], null, s8, v71, v[36:37]
	s_delay_alu instid0(VALU_DEP_3)
	v_or_b32_e32 v33, v33, v76
	v_mov_b32_e32 v72, v70
	global_store_b64 v[79:80], v[23:24], off
	v_lshlrev_b64_e32 v[23:24], 3, v[83:84]
	v_mov_b32_e32 v74, v70
	v_mad_co_u64_u32 v[78:79], null, s8, v33, v[36:37]
	v_lshlrev_b64_e32 v[71:72], 3, v[71:72]
	v_mov_b32_e32 v79, v70
	v_add_co_u32 v23, s0, s4, v23
	s_wait_alu 0xf1ff
	v_add_co_ci_u32_e64 v24, s0, s5, v24, s0
	s_delay_alu instid0(VALU_DEP_4)
	v_add_co_u32 v71, s0, s4, v71
	s_wait_alu 0xf1ff
	v_add_co_ci_u32_e64 v72, s0, s5, v72, s0
	s_clause 0x1
	global_store_b64 v[23:24], v[21:22], off
	global_store_b64 v[71:72], v[19:20], off
	v_add_nc_u32_e32 v21, 0x60, v33
	v_lshlrev_b64_e32 v[73:74], 3, v[73:74]
	v_add_nc_u32_e32 v19, 48, v33
	v_add_nc_u32_e32 v23, 0x90, v33
	;; [unrolled: 1-line block ×3, first 2 shown]
	v_mad_co_u64_u32 v[21:22], null, s8, v21, v[36:37]
	v_add_co_u32 v73, s0, s4, v73
	s_wait_alu 0xf1ff
	v_add_co_ci_u32_e64 v74, s0, s5, v74, s0
	v_mad_co_u64_u32 v[19:20], null, s8, v19, v[36:37]
	v_mov_b32_e32 v20, v70
	v_mov_b32_e32 v22, v70
	global_store_b64 v[73:74], v[17:18], off
	v_lshlrev_b64_e32 v[17:18], 3, v[78:79]
	v_mad_co_u64_u32 v[23:24], null, s8, v23, v[36:37]
	v_lshlrev_b64_e32 v[19:20], 3, v[19:20]
	v_mov_b32_e32 v24, v70
	v_mad_co_u64_u32 v[71:72], null, s8, v33, v[36:37]
	v_add_co_u32 v17, s0, s4, v17
	v_lshlrev_b64_e32 v[21:22], 3, v[21:22]
	v_mov_b32_e32 v72, v70
	s_wait_alu 0xf1ff
	v_add_co_ci_u32_e64 v18, s0, s5, v18, s0
	v_add_co_u32 v19, s0, s4, v19
	v_lshlrev_b64_e32 v[23:24], 3, v[23:24]
	s_wait_alu 0xf1ff
	v_add_co_ci_u32_e64 v20, s0, s5, v20, s0
	v_add_co_u32 v21, s0, s4, v21
	v_lshlrev_b64_e32 v[69:70], 3, v[71:72]
	s_wait_alu 0xf1ff
	v_add_co_ci_u32_e64 v22, s0, s5, v22, s0
	v_add_co_u32 v23, s0, s4, v23
	s_wait_alu 0xf1ff
	v_add_co_ci_u32_e64 v24, s0, s5, v24, s0
	v_add_co_u32 v69, s0, s4, v69
	s_wait_alu 0xf1ff
	v_add_co_ci_u32_e64 v70, s0, s5, v70, s0
	s_clause 0x4
	global_store_b64 v[17:18], v[25:26], off
	global_store_b64 v[19:20], v[67:68], off
	;; [unrolled: 1-line block ×5, first 2 shown]
.LBB0_34:
	s_or_b32 exec_lo, exec_lo, s1
	v_cmp_gt_u32_e64 s1, 0x60, v0
	v_cmp_lt_u32_e64 s0, 0x5f, v0
	s_wait_dscnt 0x5
	v_cndmask_b32_e64 v17, 0, 1, vcc_lo
	s_wait_alu 0xf1ff
	v_cndmask_b32_e64 v0, 0, 1, s1
	s_or_b32 vcc_lo, s0, s9
	s_mov_b32 s0, exec_lo
	s_wait_alu 0xfffe
	s_delay_alu instid0(VALU_DEP_1) | instskip(NEXT) | instid1(VALU_DEP_1)
	v_cndmask_b32_e32 v0, v17, v0, vcc_lo
	v_and_b32_e32 v0, 1, v0
	s_delay_alu instid0(VALU_DEP_1)
	v_cmpx_eq_u32_e32 1, v0
	s_cbranch_execz .LBB0_36
; %bb.35:
	s_wait_loadcnt_dscnt 0xf01
	v_dual_mul_f32 v0, v2, v14 :: v_dual_mul_f32 v17, v4, v16
	s_wait_dscnt 0x0
	v_mul_f32_e32 v18, v6, v10
	v_mul_f32_e32 v14, v1, v14
	;; [unrolled: 1-line block ×3, first 2 shown]
	v_fma_f32 v0, v1, v13, -v0
	v_fma_f32 v1, v3, v15, -v17
	v_mul_f32_e32 v17, v7, v12
	v_fma_f32 v3, v5, v9, -v18
	v_dual_mul_f32 v5, v5, v10 :: v_dual_fmac_f32 v16, v4, v15
	s_delay_alu instid0(VALU_DEP_3) | instskip(SKIP_1) | instid1(VALU_DEP_3)
	v_fmac_f32_e32 v17, v8, v11
	v_mul_f32_e32 v8, v8, v12
	v_dual_add_f32 v4, v1, v3 :: v_dual_fmac_f32 v5, v6, v9
	s_delay_alu instid0(VALU_DEP_2) | instskip(SKIP_2) | instid1(VALU_DEP_4)
	v_fma_f32 v7, v7, v11, -v8
	v_sub_f32_e32 v11, v0, v1
	v_fmac_f32_e32 v14, v2, v13
	v_dual_add_f32 v2, v34, v0 :: v_dual_sub_f32 v9, v16, v5
	s_delay_alu instid0(VALU_DEP_4) | instskip(SKIP_3) | instid1(VALU_DEP_4)
	v_add_f32_e32 v8, v0, v7
	v_sub_f32_e32 v12, v7, v3
	v_fma_f32 v10, -0.5, v4, v34
	v_dual_sub_f32 v13, v3, v7 :: v_dual_sub_f32 v4, v14, v17
	v_fmac_f32_e32 v34, -0.5, v8
	s_delay_alu instid0(VALU_DEP_4) | instskip(SKIP_3) | instid1(VALU_DEP_3)
	v_add_f32_e32 v8, v11, v12
	v_sub_f32_e32 v12, v1, v0
	v_sub_f32_e32 v0, v0, v7
	v_add_f32_e32 v15, v16, v5
	v_dual_fmamk_f32 v11, v9, 0xbf737871, v34 :: v_dual_add_f32 v12, v12, v13
	v_dual_add_f32 v13, v35, v14 :: v_dual_add_f32 v2, v2, v1
	s_delay_alu instid0(VALU_DEP_2) | instskip(SKIP_2) | instid1(VALU_DEP_4)
	v_fmac_f32_e32 v11, 0x3f167918, v4
	v_dual_fmamk_f32 v6, v4, 0x3f737871, v10 :: v_dual_sub_f32 v1, v1, v3
	v_fmac_f32_e32 v34, 0x3f737871, v9
	v_add_f32_e32 v2, v2, v3
	v_fma_f32 v15, -0.5, v15, v35
	v_sub_f32_e32 v3, v14, v16
	s_delay_alu instid0(VALU_DEP_3)
	v_dual_add_f32 v2, v2, v7 :: v_dual_add_f32 v7, v13, v16
	s_wait_loadcnt 0xd
	v_dual_fmac_f32 v10, 0xbf737871, v4 :: v_dual_mul_f32 v13, v63, v66
	v_fmac_f32_e32 v34, 0xbf167918, v4
	v_add_f32_e32 v4, v14, v17
	v_add_f32_e32 v7, v7, v5
	s_delay_alu instid0(VALU_DEP_4) | instskip(SKIP_2) | instid1(VALU_DEP_4)
	v_fmac_f32_e32 v10, 0xbf167918, v9
	v_fmac_f32_e32 v6, 0x3f167918, v9
	v_sub_f32_e32 v9, v17, v5
	v_dual_fmac_f32 v35, -0.5, v4 :: v_dual_add_f32 v4, v7, v17
	s_delay_alu instid0(VALU_DEP_4) | instskip(NEXT) | instid1(VALU_DEP_3)
	v_dual_fmac_f32 v10, 0x3e9e377a, v8 :: v_dual_sub_f32 v5, v5, v17
	v_dual_fmac_f32 v6, 0x3e9e377a, v8 :: v_dual_add_f32 v3, v3, v9
	v_sub_f32_e32 v9, v16, v14
	s_delay_alu instid0(VALU_DEP_4)
	v_fmamk_f32 v7, v1, 0x3f737871, v35
	v_fmamk_f32 v8, v0, 0xbf737871, v15
	v_fmac_f32_e32 v15, 0x3f737871, v0
	v_fmac_f32_e32 v11, 0x3e9e377a, v12
	v_add_f32_e32 v5, v9, v5
	v_fmac_f32_e32 v35, 0xbf737871, v1
	v_fmac_f32_e32 v13, v64, v65
	;; [unrolled: 1-line block ×4, first 2 shown]
	v_mul_f32_e32 v12, v64, v66
	v_dual_fmac_f32 v8, 0xbf167918, v1 :: v_dual_fmac_f32 v7, 0xbf167918, v0
	v_fmac_f32_e32 v35, 0x3f167918, v0
	v_fmac_f32_e32 v15, 0x3e9e377a, v3
	s_delay_alu instid0(VALU_DEP_4)
	v_fma_f32 v1, v63, v65, -v12
	s_wait_loadcnt 0xc
	v_dual_mul_f32 v0, v13, v62 :: v_dual_fmac_f32 v7, 0x3e9e377a, v5
	v_fmac_f32_e32 v35, 0x3e9e377a, v5
	s_wait_loadcnt 0xa
	v_dual_mul_f32 v5, v58, v60 :: v_dual_fmac_f32 v8, 0x3e9e377a, v3
	v_mul_f32_e32 v3, v1, v62
	v_fma_f32 v12, v61, v1, -v0
	s_wait_loadcnt 0x7
	v_mul_f32_e32 v0, v52, v56
	v_fma_f32 v5, v57, v59, -v5
	v_fmac_f32_e32 v3, v61, v13
	s_delay_alu instid0(VALU_DEP_3) | instskip(NEXT) | instid1(VALU_DEP_3)
	v_fma_f32 v14, v51, v55, -v0
	v_dual_mul_f32 v16, v5, v50 :: v_dual_mul_f32 v13, v51, v56
	s_delay_alu instid0(VALU_DEP_3) | instskip(SKIP_1) | instid1(VALU_DEP_3)
	v_mul_f32_e32 v1, v4, v3
	s_wait_loadcnt 0x6
	v_dual_mul_f32 v9, v57, v60 :: v_dual_mul_f32 v18, v14, v54
	s_delay_alu instid0(VALU_DEP_3) | instskip(NEXT) | instid1(VALU_DEP_3)
	v_fmac_f32_e32 v13, v52, v55
	v_fma_f32 v0, v2, v12, -v1
	s_delay_alu instid0(VALU_DEP_2) | instskip(NEXT) | instid1(VALU_DEP_1)
	v_dual_mul_f32 v1, v2, v3 :: v_dual_fmac_f32 v18, v53, v13
	v_dual_fmac_f32 v1, v4, v12 :: v_dual_mul_f32 v4, v7, v18
	v_dual_fmac_f32 v9, v58, v59 :: v_dual_mul_f32 v2, v13, v54
	s_delay_alu instid0(VALU_DEP_1) | instskip(SKIP_1) | instid1(VALU_DEP_3)
	v_mul_f32_e32 v17, v9, v50
	v_fmac_f32_e32 v16, v49, v9
	v_fma_f32 v12, v53, v14, -v2
	s_delay_alu instid0(VALU_DEP_3) | instskip(NEXT) | instid1(VALU_DEP_3)
	v_fma_f32 v5, v49, v5, -v17
	v_mul_f32_e32 v3, v6, v16
	v_mul_f32_e32 v9, v8, v16
	s_delay_alu instid0(VALU_DEP_4) | instskip(SKIP_1) | instid1(VALU_DEP_3)
	v_fma_f32 v4, v11, v12, -v4
	s_wait_loadcnt 0x4
	v_dual_fmac_f32 v3, v8, v5 :: v_dual_mul_f32 v8, v45, v48
	s_delay_alu instid0(VALU_DEP_1) | instskip(SKIP_2) | instid1(VALU_DEP_1)
	v_fmac_f32_e32 v8, v46, v47
	v_fma_f32 v2, v6, v5, -v9
	v_dual_mul_f32 v6, v46, v48 :: v_dual_mul_f32 v5, v11, v18
	v_fma_f32 v6, v45, v47, -v6
	s_delay_alu instid0(VALU_DEP_2) | instskip(SKIP_2) | instid1(VALU_DEP_3)
	v_fmac_f32_e32 v5, v7, v12
	s_wait_loadcnt 0x3
	v_mul_f32_e32 v7, v8, v40
	v_mul_f32_e32 v13, v6, v40
	s_delay_alu instid0(VALU_DEP_1) | instskip(NEXT) | instid1(VALU_DEP_1)
	v_dual_fmac_f32 v13, v39, v8 :: v_dual_and_b32 v8, 0xffff, v77
	v_mad_u32_u24 v18, 0xc0, v8, v75
	s_wait_loadcnt 0x1
	s_delay_alu instid0(VALU_DEP_1) | instskip(NEXT) | instid1(VALU_DEP_1)
	v_dual_mul_f32 v11, v41, v44 :: v_dual_add_nc_u32 v20, 0xc0, v18
	v_fmac_f32_e32 v11, v42, v43
	v_mul_f32_e32 v9, v42, v44
	v_fma_f32 v14, v39, v6, -v7
	v_mul_f32_e32 v7, v34, v13
	s_wait_loadcnt 0x0
	v_mad_co_u64_u32 v[20:21], null, s8, v20, v[36:37]
	v_mul_f32_e32 v6, v11, v38
	v_fma_f32 v9, v41, v43, -v9
	v_fmac_f32_e32 v7, v35, v14
	s_delay_alu instid0(VALU_DEP_2) | instskip(NEXT) | instid1(VALU_DEP_1)
	v_mul_f32_e32 v12, v9, v38
	v_dual_fmac_f32 v12, v37, v11 :: v_dual_mul_f32 v11, v35, v13
	v_fma_f32 v13, v37, v9, -v6
	v_mad_co_u64_u32 v[8:9], null, s8, v18, v[36:37]
	s_delay_alu instid0(VALU_DEP_3) | instskip(NEXT) | instid1(VALU_DEP_4)
	v_mul_f32_e32 v16, v15, v12
	v_fma_f32 v6, v34, v14, -v11
	v_mul_f32_e32 v11, v10, v12
	v_dual_mov_b32 v9, 0 :: v_dual_add_nc_u32 v14, 48, v18
	s_delay_alu instid0(VALU_DEP_4) | instskip(NEXT) | instid1(VALU_DEP_3)
	v_fma_f32 v10, v10, v13, -v16
	v_fmac_f32_e32 v11, v15, v13
	s_delay_alu instid0(VALU_DEP_3) | instskip(SKIP_4) | instid1(VALU_DEP_4)
	v_lshlrev_b64_e32 v[12:13], 3, v[8:9]
	v_add_nc_u32_e32 v8, 0x60, v18
	v_mad_co_u64_u32 v[14:15], null, s8, v14, v[36:37]
	v_mov_b32_e32 v15, v9
	v_mov_b32_e32 v21, v9
	v_mad_co_u64_u32 v[16:17], null, s8, v8, v[36:37]
	v_dual_mov_b32 v17, v9 :: v_dual_add_nc_u32 v8, 0x90, v18
	s_delay_alu instid0(VALU_DEP_4) | instskip(SKIP_1) | instid1(VALU_DEP_3)
	v_lshlrev_b64_e32 v[14:15], 3, v[14:15]
	v_add_co_u32 v12, vcc_lo, s4, v12
	v_mad_co_u64_u32 v[18:19], null, s8, v8, v[36:37]
	s_delay_alu instid0(VALU_DEP_4)
	v_lshlrev_b64_e32 v[16:17], 3, v[16:17]
	v_mov_b32_e32 v19, v9
	s_wait_alu 0xfffd
	v_add_co_ci_u32_e32 v13, vcc_lo, s5, v13, vcc_lo
	v_add_co_u32 v14, vcc_lo, s4, v14
	s_wait_alu 0xfffd
	v_add_co_ci_u32_e32 v15, vcc_lo, s5, v15, vcc_lo
	v_lshlrev_b64_e32 v[18:19], 3, v[18:19]
	v_add_co_u32 v8, vcc_lo, s4, v16
	s_wait_alu 0xfffd
	v_add_co_ci_u32_e32 v9, vcc_lo, s5, v17, vcc_lo
	v_lshlrev_b64_e32 v[16:17], 3, v[20:21]
	s_delay_alu instid0(VALU_DEP_4) | instskip(SKIP_2) | instid1(VALU_DEP_3)
	v_add_co_u32 v18, vcc_lo, s4, v18
	s_wait_alu 0xfffd
	v_add_co_ci_u32_e32 v19, vcc_lo, s5, v19, vcc_lo
	v_add_co_u32 v16, vcc_lo, s4, v16
	s_wait_alu 0xfffd
	v_add_co_ci_u32_e32 v17, vcc_lo, s5, v17, vcc_lo
	s_clause 0x4
	global_store_b64 v[12:13], v[0:1], off
	global_store_b64 v[14:15], v[2:3], off
	;; [unrolled: 1-line block ×5, first 2 shown]
.LBB0_36:
	s_nop 0
	s_sendmsg sendmsg(MSG_DEALLOC_VGPRS)
	s_endpgm
	.section	.rodata,"a",@progbits
	.p2align	6, 0x0
	.amdhsa_kernel fft_rtc_fwd_len240_factors_4_4_3_5_wgs_240_tpt_20_dim3_sp_ip_CI_sbcc_twdbase8_3step_dirReg_intrinsicReadWrite
		.amdhsa_group_segment_fixed_size 0
		.amdhsa_private_segment_fixed_size 0
		.amdhsa_kernarg_size 88
		.amdhsa_user_sgpr_count 2
		.amdhsa_user_sgpr_dispatch_ptr 0
		.amdhsa_user_sgpr_queue_ptr 0
		.amdhsa_user_sgpr_kernarg_segment_ptr 1
		.amdhsa_user_sgpr_dispatch_id 0
		.amdhsa_user_sgpr_private_segment_size 0
		.amdhsa_wavefront_size32 1
		.amdhsa_uses_dynamic_stack 0
		.amdhsa_enable_private_segment 0
		.amdhsa_system_sgpr_workgroup_id_x 1
		.amdhsa_system_sgpr_workgroup_id_y 0
		.amdhsa_system_sgpr_workgroup_id_z 0
		.amdhsa_system_sgpr_workgroup_info 0
		.amdhsa_system_vgpr_workitem_id 0
		.amdhsa_next_free_vgpr 164
		.amdhsa_next_free_sgpr 26
		.amdhsa_reserve_vcc 1
		.amdhsa_float_round_mode_32 0
		.amdhsa_float_round_mode_16_64 0
		.amdhsa_float_denorm_mode_32 3
		.amdhsa_float_denorm_mode_16_64 3
		.amdhsa_fp16_overflow 0
		.amdhsa_workgroup_processor_mode 1
		.amdhsa_memory_ordered 1
		.amdhsa_forward_progress 0
		.amdhsa_round_robin_scheduling 0
		.amdhsa_exception_fp_ieee_invalid_op 0
		.amdhsa_exception_fp_denorm_src 0
		.amdhsa_exception_fp_ieee_div_zero 0
		.amdhsa_exception_fp_ieee_overflow 0
		.amdhsa_exception_fp_ieee_underflow 0
		.amdhsa_exception_fp_ieee_inexact 0
		.amdhsa_exception_int_div_zero 0
	.end_amdhsa_kernel
	.text
.Lfunc_end0:
	.size	fft_rtc_fwd_len240_factors_4_4_3_5_wgs_240_tpt_20_dim3_sp_ip_CI_sbcc_twdbase8_3step_dirReg_intrinsicReadWrite, .Lfunc_end0-fft_rtc_fwd_len240_factors_4_4_3_5_wgs_240_tpt_20_dim3_sp_ip_CI_sbcc_twdbase8_3step_dirReg_intrinsicReadWrite
                                        ; -- End function
	.section	.AMDGPU.csdata,"",@progbits
; Kernel info:
; codeLenInByte = 9584
; NumSgprs: 28
; NumVgprs: 164
; ScratchSize: 0
; MemoryBound: 0
; FloatMode: 240
; IeeeMode: 1
; LDSByteSize: 0 bytes/workgroup (compile time only)
; SGPRBlocks: 3
; VGPRBlocks: 20
; NumSGPRsForWavesPerEU: 28
; NumVGPRsForWavesPerEU: 164
; Occupancy: 9
; WaveLimiterHint : 1
; COMPUTE_PGM_RSRC2:SCRATCH_EN: 0
; COMPUTE_PGM_RSRC2:USER_SGPR: 2
; COMPUTE_PGM_RSRC2:TRAP_HANDLER: 0
; COMPUTE_PGM_RSRC2:TGID_X_EN: 1
; COMPUTE_PGM_RSRC2:TGID_Y_EN: 0
; COMPUTE_PGM_RSRC2:TGID_Z_EN: 0
; COMPUTE_PGM_RSRC2:TIDIG_COMP_CNT: 0
	.text
	.p2alignl 7, 3214868480
	.fill 96, 4, 3214868480
	.type	__hip_cuid_1d5fba36efcd4b01,@object ; @__hip_cuid_1d5fba36efcd4b01
	.section	.bss,"aw",@nobits
	.globl	__hip_cuid_1d5fba36efcd4b01
__hip_cuid_1d5fba36efcd4b01:
	.byte	0                               ; 0x0
	.size	__hip_cuid_1d5fba36efcd4b01, 1

	.ident	"AMD clang version 19.0.0git (https://github.com/RadeonOpenCompute/llvm-project roc-6.4.0 25133 c7fe45cf4b819c5991fe208aaa96edf142730f1d)"
	.section	".note.GNU-stack","",@progbits
	.addrsig
	.addrsig_sym __hip_cuid_1d5fba36efcd4b01
	.amdgpu_metadata
---
amdhsa.kernels:
  - .args:
      - .actual_access:  read_only
        .address_space:  global
        .offset:         0
        .size:           8
        .value_kind:     global_buffer
      - .address_space:  global
        .offset:         8
        .size:           8
        .value_kind:     global_buffer
      - .actual_access:  read_only
        .address_space:  global
        .offset:         16
        .size:           8
        .value_kind:     global_buffer
      - .actual_access:  read_only
        .address_space:  global
        .offset:         24
        .size:           8
        .value_kind:     global_buffer
      - .offset:         32
        .size:           8
        .value_kind:     by_value
      - .actual_access:  read_only
        .address_space:  global
        .offset:         40
        .size:           8
        .value_kind:     global_buffer
      - .actual_access:  read_only
        .address_space:  global
        .offset:         48
        .size:           8
        .value_kind:     global_buffer
      - .offset:         56
        .size:           4
        .value_kind:     by_value
      - .actual_access:  read_only
        .address_space:  global
        .offset:         64
        .size:           8
        .value_kind:     global_buffer
      - .actual_access:  read_only
        .address_space:  global
        .offset:         72
        .size:           8
        .value_kind:     global_buffer
      - .address_space:  global
        .offset:         80
        .size:           8
        .value_kind:     global_buffer
    .group_segment_fixed_size: 0
    .kernarg_segment_align: 8
    .kernarg_segment_size: 88
    .language:       OpenCL C
    .language_version:
      - 2
      - 0
    .max_flat_workgroup_size: 240
    .name:           fft_rtc_fwd_len240_factors_4_4_3_5_wgs_240_tpt_20_dim3_sp_ip_CI_sbcc_twdbase8_3step_dirReg_intrinsicReadWrite
    .private_segment_fixed_size: 0
    .sgpr_count:     28
    .sgpr_spill_count: 0
    .symbol:         fft_rtc_fwd_len240_factors_4_4_3_5_wgs_240_tpt_20_dim3_sp_ip_CI_sbcc_twdbase8_3step_dirReg_intrinsicReadWrite.kd
    .uniform_work_group_size: 1
    .uses_dynamic_stack: false
    .vgpr_count:     164
    .vgpr_spill_count: 0
    .wavefront_size: 32
    .workgroup_processor_mode: 1
amdhsa.target:   amdgcn-amd-amdhsa--gfx1201
amdhsa.version:
  - 1
  - 2
...

	.end_amdgpu_metadata
